;; amdgpu-corpus repo=ROCm/rocFFT kind=compiled arch=gfx1201 opt=O3
	.text
	.amdgcn_target "amdgcn-amd-amdhsa--gfx1201"
	.amdhsa_code_object_version 6
	.protected	bluestein_single_back_len924_dim1_dp_op_CI_CI ; -- Begin function bluestein_single_back_len924_dim1_dp_op_CI_CI
	.globl	bluestein_single_back_len924_dim1_dp_op_CI_CI
	.p2align	8
	.type	bluestein_single_back_len924_dim1_dp_op_CI_CI,@function
bluestein_single_back_len924_dim1_dp_op_CI_CI: ; @bluestein_single_back_len924_dim1_dp_op_CI_CI
; %bb.0:
	s_load_b128 s[8:11], s[0:1], 0x28
	v_mul_u32_u24_e32 v1, 0x5d2, v0
	s_mov_b32 s2, exec_lo
	v_mov_b32_e32 v6, 0
	s_delay_alu instid0(VALU_DEP_2) | instskip(NEXT) | instid1(VALU_DEP_1)
	v_lshrrev_b32_e32 v1, 16, v1
	v_add_nc_u32_e32 v5, ttmp9, v1
	s_wait_kmcnt 0x0
	s_delay_alu instid0(VALU_DEP_1)
	v_cmpx_gt_u64_e64 s[8:9], v[5:6]
	s_cbranch_execz .LBB0_31
; %bb.1:
	s_load_b128 s[4:7], s[0:1], 0x18
	v_mul_lo_u16 v1, v1, 44
	s_movk_i32 s2, 0xfe5e
	s_mov_b32 s3, -1
	v_mov_b32_e32 v6, v5
	s_wait_kmcnt 0x0
	s_load_b128 s[12:15], s[4:5], 0x0
	s_load_b64 s[16:17], s[0:1], 0x0
	v_sub_nc_u16 v2, v0, v1
	s_delay_alu instid0(VALU_DEP_1) | instskip(NEXT) | instid1(VALU_DEP_1)
	v_and_b32_e32 v7, 0xffff, v2
	v_lshlrev_b32_e32 v168, 4, v7
	s_wait_kmcnt 0x0
	s_clause 0x3
	global_load_b128 v[115:118], v168, s[16:17]
	global_load_b128 v[159:162], v168, s[16:17] offset:704
	global_load_b128 v[163:166], v168, s[16:17] offset:7392
	;; [unrolled: 1-line block ×3, first 2 shown]
	v_mad_co_u64_u32 v[0:1], null, s14, v5, 0
	v_mad_co_u64_u32 v[3:4], null, s12, v7, 0
	scratch_store_b64 off, v[6:7], off offset:12 ; 8-byte Folded Spill
	s_mul_u64 s[4:5], s[12:13], 0x1ce
	s_mul_u64 s[2:3], s[12:13], s[2:3]
	v_mad_co_u64_u32 v[5:6], null, s15, v5, v[1:2]
	s_lshl_b64 s[2:3], s[2:3], 4
	s_delay_alu instid0(VALU_DEP_1)
	v_mov_b32_e32 v1, v5
	s_clause 0x3
	global_load_b128 v[197:200], v168, s[16:17] offset:1408
	global_load_b128 v[169:172], v168, s[16:17] offset:2112
	;; [unrolled: 1-line block ×4, first 2 shown]
	scratch_store_b32 off, v7, off          ; 4-byte Folded Spill
	v_mad_co_u64_u32 v[6:7], null, s13, v7, v[4:5]
	v_lshlrev_b64_e32 v[0:1], 4, v[0:1]
	s_clause 0x9
	global_load_b128 v[189:192], v168, s[16:17] offset:2816
	global_load_b128 v[185:188], v168, s[16:17] offset:3520
	global_load_b128 v[193:196], v168, s[16:17] offset:10208
	global_load_b128 v[201:204], v168, s[16:17] offset:10912
	global_load_b128 v[205:208], v168, s[16:17] offset:4224
	global_load_b128 v[209:212], v168, s[16:17] offset:4928
	global_load_b128 v[213:216], v168, s[16:17] offset:11616
	global_load_b128 v[217:220], v168, s[16:17] offset:12320
	global_load_b128 v[221:224], v168, s[16:17] offset:5632
	global_load_b128 v[225:228], v168, s[16:17] offset:13024
	v_mov_b32_e32 v4, v6
	v_add_co_u32 v0, vcc_lo, s10, v0
	v_add_co_ci_u32_e32 v1, vcc_lo, s11, v1, vcc_lo
	s_delay_alu instid0(VALU_DEP_3) | instskip(SKIP_1) | instid1(VALU_DEP_1)
	v_lshlrev_b64_e32 v[3:4], 4, v[3:4]
	s_lshl_b64 s[10:11], s[4:5], 4
	v_add_co_u32 v0, vcc_lo, v0, v3
	s_wait_alu 0xfffd
	s_delay_alu instid0(VALU_DEP_2) | instskip(SKIP_1) | instid1(VALU_DEP_2)
	v_add_co_ci_u32_e32 v1, vcc_lo, v1, v4, vcc_lo
	s_wait_alu 0xfffe
	v_add_co_u32 v7, vcc_lo, v0, s10
	s_wait_alu 0xfffd
	s_delay_alu instid0(VALU_DEP_2) | instskip(NEXT) | instid1(VALU_DEP_2)
	v_add_co_ci_u32_e32 v8, vcc_lo, s11, v1, vcc_lo
	v_add_co_u32 v11, vcc_lo, v7, s2
	s_wait_alu 0xfffd
	s_delay_alu instid0(VALU_DEP_2)
	v_add_co_ci_u32_e32 v12, vcc_lo, s3, v8, vcc_lo
	s_clause 0x1
	global_load_b128 v[3:6], v[0:1], off
	global_load_b128 v[7:10], v[7:8], off
	v_add_co_u32 v15, vcc_lo, v11, s10
	s_wait_alu 0xfffd
	v_add_co_ci_u32_e32 v16, vcc_lo, s11, v12, vcc_lo
	s_delay_alu instid0(VALU_DEP_2) | instskip(SKIP_1) | instid1(VALU_DEP_2)
	v_add_co_u32 v19, vcc_lo, v15, s2
	s_wait_alu 0xfffd
	v_add_co_ci_u32_e32 v20, vcc_lo, s3, v16, vcc_lo
	s_clause 0x1
	global_load_b128 v[11:14], v[11:12], off
	global_load_b128 v[15:18], v[15:16], off
	v_add_co_u32 v0, vcc_lo, v19, s10
	s_wait_alu 0xfffd
	v_add_co_ci_u32_e32 v1, vcc_lo, s11, v20, vcc_lo
	global_load_b128 v[19:22], v[19:20], off
	v_add_co_u32 v27, vcc_lo, v0, s2
	s_wait_alu 0xfffd
	v_add_co_ci_u32_e32 v28, vcc_lo, s3, v1, vcc_lo
	;; [unrolled: 4-line block ×14, first 2 shown]
	s_delay_alu instid0(VALU_DEP_2) | instskip(SKIP_1) | instid1(VALU_DEP_2)
	v_add_co_u32 v0, vcc_lo, v75, s10
	s_wait_alu 0xfffd
	v_add_co_ci_u32_e32 v1, vcc_lo, s11, v76, vcc_lo
	global_load_b128 v[71:74], v[71:72], off
	global_load_b128 v[229:232], v168, s[16:17] offset:6336
	global_load_b128 v[75:78], v[75:76], off
	global_load_b128 v[233:236], v168, s[16:17] offset:13728
	global_load_b128 v[79:82], v[0:1], off
	v_cmp_gt_u16_e32 vcc_lo, 22, v2
	s_wait_loadcnt 0x27
	scratch_store_b128 off, v[115:118], off offset:20 ; 16-byte Folded Spill
	s_wait_loadcnt 0x26
	scratch_store_b128 off, v[159:162], off offset:36 ; 16-byte Folded Spill
	;; [unrolled: 2-line block ×8, first 2 shown]
	s_wait_loadcnt 0x1d
	s_clause 0x2
	scratch_store_b128 off, v[193:196], off offset:164
	scratch_store_b128 off, v[189:192], off offset:148
	;; [unrolled: 1-line block ×3, first 2 shown]
	s_wait_loadcnt 0x1c
	scratch_store_b128 off, v[201:204], off offset:196 ; 16-byte Folded Spill
	s_wait_loadcnt 0x1b
	scratch_store_b128 off, v[205:208], off offset:212 ; 16-byte Folded Spill
	;; [unrolled: 2-line block ×7, first 2 shown]
	s_wait_loadcnt 0x15
	v_mul_f64_e32 v[83:84], v[5:6], v[117:118]
	v_mul_f64_e32 v[85:86], v[3:4], v[117:118]
	s_wait_loadcnt 0x14
	v_mul_f64_e32 v[87:88], v[9:10], v[165:166]
	v_mul_f64_e32 v[89:90], v[7:8], v[165:166]
	;; [unrolled: 3-line block ×8, first 2 shown]
	v_fma_f64 v[3:4], v[3:4], v[115:116], v[83:84]
	v_fma_f64 v[5:6], v[5:6], v[115:116], -v[85:86]
	s_wait_loadcnt 0xd
	v_mul_f64_e32 v[83:84], v[37:38], v[191:192]
	v_mul_f64_e32 v[85:86], v[35:36], v[191:192]
	s_wait_loadcnt 0xc
	v_mul_f64_e32 v[115:116], v[41:42], v[195:196]
	v_mul_f64_e32 v[117:118], v[39:40], v[195:196]
	v_fma_f64 v[7:8], v[7:8], v[163:164], v[87:88]
	v_fma_f64 v[9:10], v[9:10], v[163:164], -v[89:90]
	s_wait_loadcnt 0xb
	v_mul_f64_e32 v[119:120], v[45:46], v[187:188]
	v_mul_f64_e32 v[121:122], v[43:44], v[187:188]
	v_fma_f64 v[11:12], v[11:12], v[159:160], v[91:92]
	v_fma_f64 v[13:14], v[13:14], v[159:160], -v[93:94]
	v_fma_f64 v[15:16], v[15:16], v[181:182], v[95:96]
	s_wait_loadcnt 0xa
	v_mul_f64_e32 v[123:124], v[49:50], v[203:204]
	v_mul_f64_e32 v[125:126], v[47:48], v[203:204]
	v_fma_f64 v[17:18], v[17:18], v[181:182], -v[97:98]
	v_fma_f64 v[19:20], v[19:20], v[197:198], v[99:100]
	v_fma_f64 v[21:22], v[21:22], v[197:198], -v[101:102]
	s_wait_loadcnt 0x9
	v_mul_f64_e32 v[127:128], v[53:54], v[207:208]
	v_mul_f64_e32 v[129:130], v[51:52], v[207:208]
	v_fma_f64 v[23:24], v[23:24], v[173:174], v[103:104]
	v_fma_f64 v[25:26], v[25:26], v[173:174], -v[105:106]
	s_wait_loadcnt 0x8
	v_mul_f64_e32 v[131:132], v[57:58], v[215:216]
	v_mul_f64_e32 v[133:134], v[55:56], v[215:216]
	;; [unrolled: 5-line block ×4, first 2 shown]
	s_wait_loadcnt 0x5
	v_mul_f64_e32 v[143:144], v[69:70], v[223:224]
	v_mul_f64_e32 v[145:146], v[67:68], v[223:224]
	v_fma_f64 v[35:36], v[35:36], v[189:190], v[83:84]
	v_fma_f64 v[37:38], v[37:38], v[189:190], -v[85:86]
	v_fma_f64 v[39:40], v[39:40], v[193:194], v[115:116]
	v_fma_f64 v[41:42], v[41:42], v[193:194], -v[117:118]
	s_wait_loadcnt 0x4
	v_mul_f64_e32 v[147:148], v[73:74], v[227:228]
	v_mul_f64_e32 v[149:150], v[71:72], v[227:228]
	s_wait_loadcnt 0x2
	v_mul_f64_e32 v[151:152], v[77:78], v[231:232]
	v_mul_f64_e32 v[153:154], v[75:76], v[231:232]
	;; [unrolled: 3-line block ×3, first 2 shown]
	v_fma_f64 v[43:44], v[43:44], v[185:186], v[119:120]
	v_fma_f64 v[45:46], v[45:46], v[185:186], -v[121:122]
	v_fma_f64 v[47:48], v[47:48], v[201:202], v[123:124]
	v_fma_f64 v[49:50], v[49:50], v[201:202], -v[125:126]
	s_clause 0x1
	scratch_store_b128 off, v[229:232], off offset:308
	scratch_store_b128 off, v[233:236], off offset:324
	v_fma_f64 v[51:52], v[51:52], v[205:206], v[127:128]
	v_fma_f64 v[53:54], v[53:54], v[205:206], -v[129:130]
	s_load_b64 s[8:9], s[0:1], 0x38
	s_load_b128 s[4:7], s[6:7], 0x0
	v_add_co_u32 v83, s12, s16, v168
	v_fma_f64 v[55:56], v[55:56], v[213:214], v[131:132]
	v_fma_f64 v[57:58], v[57:58], v[213:214], -v[133:134]
	s_wait_alu 0xf1ff
	v_add_co_ci_u32_e64 v84, null, s17, 0, s12
	v_fma_f64 v[59:60], v[59:60], v[209:210], v[135:136]
	v_fma_f64 v[61:62], v[61:62], v[209:210], -v[137:138]
	scratch_store_b64 off, v[83:84], off offset:4 ; 8-byte Folded Spill
	v_fma_f64 v[63:64], v[63:64], v[217:218], v[139:140]
	v_fma_f64 v[65:66], v[65:66], v[217:218], -v[141:142]
	ds_store_b128 v168, v[3:6]
	ds_store_b128 v168, v[11:14] offset:704
	ds_store_b128 v168, v[7:10] offset:7392
	;; [unrolled: 1-line block ×15, first 2 shown]
	v_fma_f64 v[67:68], v[67:68], v[221:222], v[143:144]
	v_fma_f64 v[69:70], v[69:70], v[221:222], -v[145:146]
	v_fma_f64 v[75:76], v[75:76], v[229:230], v[151:152]
	v_fma_f64 v[77:78], v[77:78], v[229:230], -v[153:154]
	v_fma_f64 v[71:72], v[71:72], v[225:226], v[147:148]
	v_fma_f64 v[73:74], v[73:74], v[225:226], -v[149:150]
	v_fma_f64 v[79:80], v[79:80], v[233:234], v[155:156]
	v_fma_f64 v[81:82], v[81:82], v[233:234], -v[157:158]
	ds_store_b128 v168, v[67:70] offset:5632
	ds_store_b128 v168, v[75:78] offset:6336
	;; [unrolled: 1-line block ×4, first 2 shown]
	s_and_saveexec_b32 s12, vcc_lo
	s_cbranch_execz .LBB0_3
; %bb.2:
	v_add_co_u32 v0, s2, v0, s2
	s_wait_alu 0xf1ff
	v_add_co_ci_u32_e64 v1, s2, s3, v1, s2
	s_delay_alu instid0(VALU_DEP_2) | instskip(SKIP_1) | instid1(VALU_DEP_2)
	v_add_co_u32 v12, s2, v0, s10
	s_wait_alu 0xf1ff
	v_add_co_ci_u32_e64 v13, s2, s11, v1, s2
	global_load_b128 v[0:3], v[0:1], off
	scratch_load_b64 v[8:9], off, off offset:4 ; 8-byte Folded Reload
	s_wait_loadcnt 0x0
	s_clause 0x1
	global_load_b128 v[4:7], v[8:9], off offset:7040
	global_load_b128 v[8:11], v[8:9], off offset:14432
	global_load_b128 v[12:15], v[12:13], off
	s_wait_loadcnt 0x2
	v_mul_f64_e32 v[16:17], v[2:3], v[6:7]
	v_mul_f64_e32 v[6:7], v[0:1], v[6:7]
	s_wait_loadcnt 0x0
	v_mul_f64_e32 v[18:19], v[14:15], v[10:11]
	v_mul_f64_e32 v[10:11], v[12:13], v[10:11]
	s_delay_alu instid0(VALU_DEP_4) | instskip(NEXT) | instid1(VALU_DEP_4)
	v_fma_f64 v[0:1], v[0:1], v[4:5], v[16:17]
	v_fma_f64 v[2:3], v[2:3], v[4:5], -v[6:7]
	s_delay_alu instid0(VALU_DEP_4) | instskip(NEXT) | instid1(VALU_DEP_4)
	v_fma_f64 v[4:5], v[12:13], v[8:9], v[18:19]
	v_fma_f64 v[6:7], v[14:15], v[8:9], -v[10:11]
	ds_store_b128 v168, v[0:3] offset:7040
	ds_store_b128 v168, v[4:7] offset:14432
.LBB0_3:
	s_wait_alu 0xfffe
	s_or_b32 exec_lo, exec_lo, s12
	global_wb scope:SCOPE_SE
	s_wait_storecnt_dscnt 0x0
	s_wait_kmcnt 0x0
	s_barrier_signal -1
	s_barrier_wait -1
	global_inv scope:SCOPE_SE
	ds_load_b128 v[36:39], v168
	ds_load_b128 v[40:43], v168 offset:704
	ds_load_b128 v[88:91], v168 offset:7392
	;; [unrolled: 1-line block ×19, first 2 shown]
                                        ; implicit-def: $vgpr12_vgpr13
                                        ; implicit-def: $vgpr48_vgpr49
	s_and_saveexec_b32 s2, vcc_lo
	s_cbranch_execz .LBB0_5
; %bb.4:
	ds_load_b128 v[12:15], v168 offset:7040
	ds_load_b128 v[48:51], v168 offset:14432
.LBB0_5:
	s_wait_alu 0xfffe
	s_or_b32 exec_lo, exec_lo, s2
	s_wait_dscnt 0xd
	v_add_f64_e64 v[94:95], v[46:47], -v[74:75]
	scratch_load_b32 v75, off, off          ; 4-byte Folded Reload
	v_add_f64_e64 v[88:89], v[36:37], -v[88:89]
	v_add_f64_e64 v[90:91], v[38:39], -v[90:91]
	;; [unrolled: 1-line block ×3, first 2 shown]
	s_wait_dscnt 0xc
	v_add_f64_e64 v[78:79], v[28:29], -v[80:81]
	v_add_f64_e64 v[80:81], v[30:31], -v[82:83]
	;; [unrolled: 1-line block ×4, first 2 shown]
	s_wait_dscnt 0x9
	v_add_f64_e64 v[96:97], v[32:33], -v[68:69]
	v_add_f64_e64 v[98:99], v[34:35], -v[70:71]
	s_wait_dscnt 0x8
	v_add_f64_e64 v[64:65], v[24:25], -v[64:65]
	v_add_f64_e64 v[66:67], v[26:27], -v[66:67]
	;; [unrolled: 3-line block ×6, first 2 shown]
	v_add_f64_e64 v[4:5], v[12:13], -v[48:49]
	v_add_f64_e64 v[6:7], v[14:15], -v[50:51]
	s_load_b64 s[2:3], s[0:1], 0x8
	global_wb scope:SCOPE_SE
	s_wait_loadcnt 0x0
	s_wait_kmcnt 0x0
	s_barrier_signal -1
	s_barrier_wait -1
	global_inv scope:SCOPE_SE
	v_fma_f64 v[46:47], v[46:47], 2.0, -v[94:95]
	v_fma_f64 v[36:37], v[36:37], 2.0, -v[88:89]
	;; [unrolled: 1-line block ×22, first 2 shown]
	v_add_co_u32 v171, s0, v75, 44
	s_wait_alu 0xf1ff
	v_add_co_ci_u32_e64 v68, null, 0, 0, s0
	v_add_co_u32 v68, s0, 0x58, v75
	s_wait_alu 0xf1ff
	v_add_co_ci_u32_e64 v69, null, 0, 0, s0
	v_add_co_u32 v69, null, 0x84, v75
	v_lshlrev_b32_e32 v73, 1, v75
	v_add_co_u32 v70, null, 0xb0, v75
	v_lshlrev_b32_e32 v77, 5, v75
	v_lshlrev_b32_e32 v82, 5, v171
	;; [unrolled: 1-line block ×4, first 2 shown]
	v_add_nc_u32_e32 v101, 0x2c0, v73
	v_add_co_u32 v71, null, 0xdc, v75
	v_add_co_u32 v72, null, 0x108, v75
	ds_store_b128 v77, v[36:39]
	scratch_store_b32 off, v77, off offset:428 ; 4-byte Folded Spill
	ds_store_b128 v77, v[88:91] offset:16
	ds_store_b128 v82, v[40:43]
	ds_store_b128 v82, v[84:87] offset:16
	ds_store_b128 v13, v[44:47]
	;; [unrolled: 2-line block ×3, first 2 shown]
	ds_store_b128 v12, v[78:81] offset:16
	v_add_nc_u32_e32 v79, 0x268, v73
	v_lshlrev_b32_e32 v15, 4, v101
	scratch_store_b32 off, v13, off offset:436 ; 4-byte Folded Spill
	v_lshlrev_b32_e32 v13, 5, v70
	v_add_co_u32 v74, null, 0x1b8, v75
	s_clause 0x1
	scratch_store_b32 off, v15, off offset:448
	scratch_store_b32 off, v12, off offset:412
	v_lshlrev_b32_e32 v12, 5, v71
	scratch_store_b32 off, v13, off offset:416 ; 4-byte Folded Spill
	ds_store_b128 v13, v[32:35]
	ds_store_b128 v13, v[96:99] offset:16
	v_lshlrev_b32_e32 v14, 5, v72
	v_lshlrev_b32_e32 v13, 4, v79
	v_add_nc_u32_e32 v103, 0x318, v73
	v_lshlrev_b32_e32 v75, 1, v171
	v_lshlrev_b32_e32 v76, 1, v68
	;; [unrolled: 1-line block ×5, first 2 shown]
	ds_store_b128 v12, v[24:27]
	ds_store_b128 v12, v[64:67] offset:16
	s_clause 0x2
	scratch_store_b32 off, v12, off offset:420
	scratch_store_b32 off, v13, off offset:424
	;; [unrolled: 1-line block ×3, first 2 shown]
	v_lshlrev_b32_e32 v102, 1, v72
	v_lshlrev_b32_e32 v12, 4, v73
	ds_store_b128 v14, v[20:23]
	ds_store_b128 v14, v[60:63] offset:16
	ds_store_b128 v13, v[56:59] offset:16
	v_lshlrev_b32_e32 v13, 5, v74
	scratch_store_b32 off, v14, off offset:440 ; 4-byte Folded Spill
	v_lshlrev_b32_e32 v14, 4, v103
	ds_store_b128 v12, v[16:19] offset:9856
	ds_store_b128 v12, v[48:51] offset:11264
	scratch_store_b32 off, v13, off offset:756 ; 4-byte Folded Spill
	ds_store_b128 v15, v[52:55] offset:16
	ds_store_b128 v12, v[8:11] offset:12672
	scratch_store_b32 off, v14, off offset:444 ; 4-byte Folded Spill
	ds_store_b128 v14, v[104:107] offset:16
	s_and_saveexec_b32 s0, vcc_lo
	s_cbranch_execz .LBB0_7
; %bb.6:
	v_lshlrev_b32_e32 v8, 5, v74
	ds_store_b128 v8, v[0:3]
	ds_store_b128 v8, v[4:7] offset:16
.LBB0_7:
	s_wait_alu 0xfffe
	s_or_b32 exec_lo, exec_lo, s0
	global_wb scope:SCOPE_SE
	s_wait_storecnt_dscnt 0x0
	s_barrier_signal -1
	s_barrier_wait -1
	global_inv scope:SCOPE_SE
	ds_load_b128 v[8:11], v168
	ds_load_b128 v[12:15], v168 offset:704
	ds_load_b128 v[32:35], v168 offset:7392
	;; [unrolled: 1-line block ×19, first 2 shown]
	s_and_saveexec_b32 s0, vcc_lo
	s_cbranch_execz .LBB0_9
; %bb.8:
	ds_load_b128 v[0:3], v168 offset:7040
	ds_load_b128 v[4:7], v168 offset:14432
.LBB0_9:
	s_wait_alu 0xfffe
	s_or_b32 exec_lo, exec_lo, s0
	scratch_load_b32 v104, off, off         ; 4-byte Folded Reload
	s_wait_loadcnt 0x0
	v_and_b32_e32 v148, 1, v104
	s_delay_alu instid0(VALU_DEP_1)
	v_lshlrev_b32_e32 v104, 4, v148
	v_and_or_b32 v77, 0x1fc, v77, v148
	v_and_or_b32 v78, 0x1fc, v78, v148
	;; [unrolled: 1-line block ×4, first 2 shown]
	global_load_b128 v[104:107], v104, s[2:3]
	v_and_or_b32 v79, 0x2fc, v79, v148
	scratch_store_b32 off, v148, off offset:340 ; 4-byte Folded Spill
	v_lshlrev_b32_e32 v79, 4, v79
	s_wait_loadcnt_dscnt 0x11
	v_mul_f64_e32 v[108:109], v[34:35], v[106:107]
	v_mul_f64_e32 v[110:111], v[32:33], v[106:107]
	s_wait_dscnt 0x10
	v_mul_f64_e32 v[112:113], v[30:31], v[106:107]
	v_mul_f64_e32 v[114:115], v[28:29], v[106:107]
	s_wait_dscnt 0xd
	;; [unrolled: 3-line block ×3, first 2 shown]
	v_mul_f64_e32 v[128:129], v[46:47], v[106:107]
	v_mul_f64_e32 v[130:131], v[44:45], v[106:107]
	;; [unrolled: 1-line block ×6, first 2 shown]
	s_wait_dscnt 0x5
	v_mul_f64_e32 v[132:133], v[58:59], v[106:107]
	v_mul_f64_e32 v[134:135], v[56:57], v[106:107]
	s_wait_dscnt 0x4
	v_mul_f64_e32 v[136:137], v[54:55], v[106:107]
	v_mul_f64_e32 v[138:139], v[52:53], v[106:107]
	;; [unrolled: 3-line block ×4, first 2 shown]
	v_fma_f64 v[32:33], v[32:33], v[104:105], -v[108:109]
	v_fma_f64 v[34:35], v[34:35], v[104:105], v[110:111]
	v_fma_f64 v[108:109], v[28:29], v[104:105], -v[112:113]
	v_fma_f64 v[110:111], v[30:31], v[104:105], v[114:115]
	;; [unrolled: 2-line block ×4, first 2 shown]
	v_mul_f64_e32 v[128:129], v[6:7], v[106:107]
	v_mul_f64_e32 v[130:131], v[4:5], v[106:107]
	v_fma_f64 v[112:113], v[36:37], v[104:105], -v[120:121]
	v_fma_f64 v[114:115], v[38:39], v[104:105], v[122:123]
	v_fma_f64 v[48:49], v[48:49], v[104:105], -v[124:125]
	v_fma_f64 v[50:51], v[50:51], v[104:105], v[126:127]
	;; [unrolled: 2-line block ×6, first 2 shown]
	v_add_f64_e64 v[28:29], v[8:9], -v[32:33]
	v_add_f64_e64 v[30:31], v[10:11], -v[34:35]
	;; [unrolled: 1-line block ×6, first 2 shown]
	v_fma_f64 v[108:109], v[4:5], v[104:105], -v[128:129]
	v_fma_f64 v[110:111], v[6:7], v[104:105], v[130:131]
	v_add_f64_e64 v[40:41], v[20:21], -v[112:113]
	v_add_f64_e64 v[42:43], v[22:23], -v[114:115]
	;; [unrolled: 1-line block ×14, first 2 shown]
	v_lshlrev_b32_e32 v4, 1, v74
	v_and_or_b32 v112, 0x7c, v73, v148
	v_and_or_b32 v113, 0xfc, v75, v148
	;; [unrolled: 1-line block ×3, first 2 shown]
	scratch_store_b32 off, v4, off offset:408 ; 4-byte Folded Spill
	global_wb scope:SCOPE_SE
	s_wait_storecnt 0x0
	s_barrier_signal -1
	s_barrier_wait -1
	global_inv scope:SCOPE_SE
	v_fma_f64 v[4:5], v[8:9], 2.0, -v[28:29]
	v_fma_f64 v[6:7], v[10:11], 2.0, -v[30:31]
	;; [unrolled: 1-line block ×6, first 2 shown]
	v_add_f64_e64 v[244:245], v[0:1], -v[108:109]
	v_add_f64_e64 v[246:247], v[2:3], -v[110:111]
	v_fma_f64 v[16:17], v[20:21], 2.0, -v[40:41]
	v_fma_f64 v[18:19], v[22:23], 2.0, -v[42:43]
	;; [unrolled: 1-line block ×14, first 2 shown]
	v_and_or_b32 v92, 0x3fc, v101, v148
	v_and_or_b32 v93, 0x3fc, v103, v148
	v_lshlrev_b32_e32 v101, 4, v112
	v_lshlrev_b32_e32 v99, 4, v113
	;; [unrolled: 1-line block ×9, first 2 shown]
	scratch_store_b32 off, v101, off offset:488 ; 4-byte Folded Spill
	ds_store_b128 v101, v[4:7]
	ds_store_b128 v101, v[28:31] offset:32
	ds_store_b128 v99, v[8:11]
	scratch_store_b32 off, v99, off offset:484 ; 4-byte Folded Spill
	ds_store_b128 v99, v[32:35] offset:32
	ds_store_b128 v98, v[12:15]
	scratch_store_b32 off, v98, off offset:480 ; 4-byte Folded Spill
	;; [unrolled: 3-line block ×9, first 2 shown]
	ds_store_b128 v77, v[64:67] offset:32
	s_and_saveexec_b32 s0, vcc_lo
	s_cbranch_execz .LBB0_11
; %bb.10:
	s_clause 0x1
	scratch_load_b32 v4, off, off offset:340
	scratch_load_b32 v5, off, off offset:408
	v_fma_f64 v[2:3], v[2:3], 2.0, -v[246:247]
	v_fma_f64 v[0:1], v[0:1], 2.0, -v[244:245]
	s_wait_loadcnt 0x0
	v_and_or_b32 v4, 0x3fc, v5, v4
	s_delay_alu instid0(VALU_DEP_1)
	v_lshlrev_b32_e32 v4, 4, v4
	ds_store_b128 v4, v[0:3]
	ds_store_b128 v4, v[244:247] offset:32
.LBB0_11:
	s_wait_alu 0xfffe
	s_or_b32 exec_lo, exec_lo, s0
	scratch_load_b32 v210, off, off         ; 4-byte Folded Reload
	global_wb scope:SCOPE_SE
	s_wait_storecnt 0x0
	s_wait_loadcnt_dscnt 0x0
	s_barrier_signal -1
	s_barrier_wait -1
	global_inv scope:SCOPE_SE
	s_mov_b32 s0, 0xe8584caa
	s_mov_b32 s1, 0x3febb67a
	s_mov_b32 s11, 0xbfebb67a
	s_wait_alu 0xfffe
	s_mov_b32 s10, s0
	s_mov_b32 s20, 0xe976ee23
	;; [unrolled: 1-line block ×17, first 2 shown]
	v_and_b32_e32 v4, 3, v210
	s_delay_alu instid0(VALU_DEP_1)
	v_lshlrev_b32_e32 v0, 5, v4
	s_clause 0x1
	global_load_b128 v[84:87], v0, s[2:3] offset:32
	global_load_b128 v[80:83], v0, s[2:3] offset:48
	ds_load_b128 v[88:91], v168 offset:4928
	ds_load_b128 v[92:95], v168 offset:9856
	;; [unrolled: 1-line block ×7, first 2 shown]
	s_wait_loadcnt_dscnt 0x104
	v_mul_f64_e32 v[29:30], v[2:3], v[86:87]
	v_mul_f64_e32 v[31:32], v[0:1], v[86:87]
	s_wait_loadcnt 0x0
	v_mul_f64_e32 v[25:26], v[94:95], v[82:83]
	v_mul_f64_e32 v[27:28], v[92:93], v[82:83]
	v_mul_f64_e32 v[21:22], v[90:91], v[86:87]
	v_mul_f64_e32 v[23:24], v[88:89], v[86:87]
	v_fma_f64 v[29:30], v[0:1], v[84:85], -v[29:30]
	v_fma_f64 v[31:32], v[2:3], v[84:85], v[31:32]
	ds_load_b128 v[0:3], v168 offset:7744
	s_wait_dscnt 0x3
	v_mul_f64_e32 v[33:34], v[11:12], v[82:83]
	v_mul_f64_e32 v[35:36], v[9:10], v[82:83]
	v_fma_f64 v[45:46], v[92:93], v[80:81], -v[25:26]
	v_fma_f64 v[47:48], v[94:95], v[80:81], v[27:28]
	ds_load_b128 v[25:28], v168 offset:7040
	s_wait_dscnt 0x3
	v_mul_f64_e32 v[37:38], v[15:16], v[86:87]
	v_fma_f64 v[41:42], v[88:89], v[84:85], -v[21:22]
	v_fma_f64 v[43:44], v[90:91], v[84:85], v[23:24]
	ds_load_b128 v[21:24], v168 offset:11968
	s_wait_dscnt 0x3
	v_mul_f64_e32 v[49:50], v[19:20], v[82:83]
	v_mul_f64_e32 v[51:52], v[17:18], v[82:83]
	;; [unrolled: 1-line block ×3, first 2 shown]
	v_fma_f64 v[33:34], v[9:10], v[80:81], -v[33:34]
	v_fma_f64 v[35:36], v[11:12], v[80:81], v[35:36]
	s_wait_dscnt 0x1
	v_mul_f64_e32 v[9:10], v[27:28], v[86:87]
	v_mul_f64_e32 v[11:12], v[25:26], v[86:87]
	v_fma_f64 v[37:38], v[13:14], v[84:85], -v[37:38]
	s_wait_dscnt 0x0
	v_mul_f64_e32 v[13:14], v[23:24], v[82:83]
	v_fma_f64 v[49:50], v[17:18], v[80:81], -v[49:50]
	v_fma_f64 v[51:52], v[19:20], v[80:81], v[51:52]
	v_mul_f64_e32 v[17:18], v[2:3], v[86:87]
	v_mul_f64_e32 v[19:20], v[0:1], v[86:87]
	v_fma_f64 v[39:40], v[15:16], v[84:85], v[39:40]
	v_mul_f64_e32 v[15:16], v[21:22], v[82:83]
	v_fma_f64 v[53:54], v[25:26], v[84:85], -v[9:10]
	v_fma_f64 v[55:56], v[27:28], v[84:85], v[11:12]
	ds_load_b128 v[9:12], v168 offset:12672
	v_add_f64_e64 v[25:26], v[31:32], -v[35:36]
	v_fma_f64 v[57:58], v[21:22], v[80:81], -v[13:14]
	v_add_f64_e64 v[21:22], v[41:42], -v[45:46]
	v_fma_f64 v[61:62], v[0:1], v[84:85], -v[17:18]
	v_fma_f64 v[63:64], v[2:3], v[84:85], v[19:20]
	ds_load_b128 v[0:3], v168 offset:13376
	v_fma_f64 v[59:60], v[23:24], v[80:81], v[15:16]
	s_wait_dscnt 0x1
	v_mul_f64_e32 v[13:14], v[11:12], v[82:83]
	s_delay_alu instid0(VALU_DEP_1) | instskip(SKIP_1) | instid1(VALU_DEP_2)
	v_fma_f64 v[65:66], v[9:10], v[80:81], -v[13:14]
	v_mul_f64_e32 v[9:10], v[9:10], v[82:83]
	v_add_f64_e32 v[75:76], v[61:62], v[65:66]
	s_delay_alu instid0(VALU_DEP_2)
	v_fma_f64 v[73:74], v[11:12], v[80:81], v[9:10]
	ds_load_b128 v[9:12], v168 offset:8448
	ds_load_b128 v[13:16], v168 offset:9152
	s_wait_dscnt 0x1
	v_mul_f64_e32 v[17:18], v[11:12], v[86:87]
	v_add_f64_e32 v[94:95], v[63:64], v[73:74]
	s_delay_alu instid0(VALU_DEP_2) | instskip(SKIP_2) | instid1(VALU_DEP_2)
	v_fma_f64 v[77:78], v[9:10], v[84:85], -v[17:18]
	v_mul_f64_e32 v[9:10], v[9:10], v[86:87]
	v_add_f64_e64 v[17:18], v[43:44], -v[47:48]
	v_fma_f64 v[88:89], v[11:12], v[84:85], v[9:10]
	v_mul_f64_e32 v[9:10], v[2:3], v[82:83]
	s_delay_alu instid0(VALU_DEP_1) | instskip(SKIP_1) | instid1(VALU_DEP_1)
	v_fma_f64 v[90:91], v[0:1], v[80:81], -v[9:10]
	v_mul_f64_e32 v[0:1], v[0:1], v[82:83]
	v_fma_f64 v[92:93], v[2:3], v[80:81], v[0:1]
	s_wait_dscnt 0x0
	v_mul_f64_e32 v[0:1], v[15:16], v[86:87]
	s_delay_alu instid0(VALU_DEP_2) | instskip(NEXT) | instid1(VALU_DEP_2)
	v_add_f64_e64 v[108:109], v[88:89], -v[92:93]
	v_fma_f64 v[96:97], v[13:14], v[84:85], -v[0:1]
	v_mul_f64_e32 v[0:1], v[13:14], v[86:87]
	v_add_f64_e32 v[13:14], v[41:42], v[45:46]
	s_delay_alu instid0(VALU_DEP_2) | instskip(SKIP_3) | instid1(VALU_DEP_1)
	v_fma_f64 v[98:99], v[15:16], v[84:85], v[0:1]
	ds_load_b128 v[0:3], v168 offset:14080
	s_wait_dscnt 0x0
	v_mul_f64_e32 v[9:10], v[2:3], v[82:83]
	v_fma_f64 v[100:101], v[0:1], v[80:81], -v[9:10]
	v_mul_f64_e32 v[0:1], v[0:1], v[82:83]
	s_delay_alu instid0(VALU_DEP_1)
	v_fma_f64 v[102:103], v[2:3], v[80:81], v[0:1]
	ds_load_b128 v[0:3], v168
	ds_load_b128 v[9:12], v168 offset:704
	s_wait_dscnt 0x1
	v_fma_f64 v[15:16], v[13:14], -0.5, v[0:1]
	v_add_f64_e32 v[13:14], v[43:44], v[47:48]
	v_add_f64_e32 v[0:1], v[0:1], v[41:42]
	;; [unrolled: 1-line block ×3, first 2 shown]
	s_delay_alu instid0(VALU_DEP_3)
	v_fma_f64 v[19:20], v[13:14], -0.5, v[2:3]
	v_fma_f64 v[13:14], v[17:18], s[0:1], v[15:16]
	s_wait_alu 0xfffe
	v_fma_f64 v[17:18], v[17:18], s[10:11], v[15:16]
	v_add_f64_e32 v[2:3], v[2:3], v[43:44]
	v_add_f64_e32 v[43:44], v[39:40], v[51:52]
	;; [unrolled: 1-line block ×3, first 2 shown]
	v_add_f64_e64 v[45:46], v[37:38], -v[49:50]
	v_fma_f64 v[15:16], v[21:22], s[10:11], v[19:20]
	v_fma_f64 v[19:20], v[21:22], s[0:1], v[19:20]
	v_add_f64_e32 v[21:22], v[29:30], v[33:34]
	v_add_f64_e32 v[2:3], v[2:3], v[47:48]
	s_wait_dscnt 0x0
	s_delay_alu instid0(VALU_DEP_2) | instskip(SKIP_3) | instid1(VALU_DEP_3)
	v_fma_f64 v[23:24], v[21:22], -0.5, v[9:10]
	v_add_f64_e32 v[21:22], v[31:32], v[35:36]
	v_add_f64_e32 v[9:10], v[9:10], v[29:30]
	v_add_f64_e64 v[29:30], v[29:30], -v[33:34]
	v_fma_f64 v[27:28], v[21:22], -0.5, v[11:12]
	v_add_f64_e32 v[11:12], v[11:12], v[31:32]
	s_delay_alu instid0(VALU_DEP_4)
	v_add_f64_e32 v[9:10], v[9:10], v[33:34]
	v_fma_f64 v[21:22], v[25:26], s[0:1], v[23:24]
	v_fma_f64 v[25:26], v[25:26], s[10:11], v[23:24]
	v_fma_f64 v[23:24], v[29:30], s[10:11], v[27:28]
	v_add_f64_e32 v[11:12], v[11:12], v[35:36]
	v_fma_f64 v[27:28], v[29:30], s[0:1], v[27:28]
	ds_load_b128 v[29:32], v168 offset:1408
	ds_load_b128 v[33:36], v168 offset:2112
	s_wait_dscnt 0x1
	v_fma_f64 v[41:42], v[41:42], -0.5, v[29:30]
	v_fma_f64 v[43:44], v[43:44], -0.5, v[31:32]
	v_add_f64_e32 v[31:32], v[31:32], v[39:40]
	v_add_f64_e64 v[39:40], v[39:40], -v[51:52]
	v_add_f64_e32 v[29:30], v[29:30], v[37:38]
	s_delay_alu instid0(VALU_DEP_3) | instskip(NEXT) | instid1(VALU_DEP_3)
	v_add_f64_e32 v[31:32], v[31:32], v[51:52]
	v_fma_f64 v[37:38], v[39:40], s[0:1], v[41:42]
	v_fma_f64 v[41:42], v[39:40], s[10:11], v[41:42]
	;; [unrolled: 1-line block ×4, first 2 shown]
	v_add_f64_e32 v[45:46], v[53:54], v[57:58]
	v_add_f64_e32 v[29:30], v[29:30], v[49:50]
	v_add_f64_e64 v[49:50], v[55:56], -v[59:60]
	s_wait_dscnt 0x0
	s_delay_alu instid0(VALU_DEP_3) | instskip(SKIP_3) | instid1(VALU_DEP_3)
	v_fma_f64 v[47:48], v[45:46], -0.5, v[33:34]
	v_add_f64_e32 v[45:46], v[55:56], v[59:60]
	v_add_f64_e32 v[33:34], v[33:34], v[53:54]
	v_add_f64_e64 v[53:54], v[53:54], -v[57:58]
	v_fma_f64 v[51:52], v[45:46], -0.5, v[35:36]
	v_add_f64_e32 v[35:36], v[35:36], v[55:56]
	s_delay_alu instid0(VALU_DEP_4)
	v_add_f64_e32 v[33:34], v[33:34], v[57:58]
	v_fma_f64 v[45:46], v[49:50], s[0:1], v[47:48]
	v_fma_f64 v[49:50], v[49:50], s[10:11], v[47:48]
	;; [unrolled: 1-line block ×3, first 2 shown]
	v_add_f64_e32 v[35:36], v[35:36], v[59:60]
	v_fma_f64 v[51:52], v[53:54], s[0:1], v[51:52]
	ds_load_b128 v[53:56], v168 offset:2816
	ds_load_b128 v[57:60], v168 offset:3520
	global_wb scope:SCOPE_SE
	s_wait_dscnt 0x0
	s_barrier_signal -1
	s_barrier_wait -1
	global_inv scope:SCOPE_SE
	v_fma_f64 v[75:76], v[75:76], -0.5, v[53:54]
	v_add_f64_e32 v[53:54], v[53:54], v[61:62]
	v_fma_f64 v[94:95], v[94:95], -0.5, v[55:56]
	v_add_f64_e32 v[55:56], v[55:56], v[63:64]
	v_add_f64_e64 v[63:64], v[63:64], -v[73:74]
	s_delay_alu instid0(VALU_DEP_4) | instskip(SKIP_1) | instid1(VALU_DEP_4)
	v_add_f64_e32 v[53:54], v[53:54], v[65:66]
	v_add_f64_e64 v[65:66], v[61:62], -v[65:66]
	v_add_f64_e32 v[55:56], v[55:56], v[73:74]
	s_delay_alu instid0(VALU_DEP_4) | instskip(SKIP_1) | instid1(VALU_DEP_4)
	v_fma_f64 v[61:62], v[63:64], s[0:1], v[75:76]
	v_fma_f64 v[73:74], v[63:64], s[10:11], v[75:76]
	;; [unrolled: 1-line block ×4, first 2 shown]
	v_add_f64_e32 v[65:66], v[77:78], v[90:91]
	v_add_f64_e32 v[94:95], v[88:89], v[92:93]
	s_delay_alu instid0(VALU_DEP_2) | instskip(NEXT) | instid1(VALU_DEP_2)
	v_fma_f64 v[65:66], v[65:66], -0.5, v[57:58]
	v_fma_f64 v[94:95], v[94:95], -0.5, v[59:60]
	v_add_f64_e32 v[59:60], v[59:60], v[88:89]
	v_add_f64_e32 v[57:58], v[57:58], v[77:78]
	v_add_f64_e64 v[77:78], v[77:78], -v[90:91]
	v_fma_f64 v[88:89], v[108:109], s[0:1], v[65:66]
	s_delay_alu instid0(VALU_DEP_4) | instskip(NEXT) | instid1(VALU_DEP_4)
	v_add_f64_e32 v[59:60], v[59:60], v[92:93]
	v_add_f64_e32 v[57:58], v[57:58], v[90:91]
	v_fma_f64 v[92:93], v[108:109], s[10:11], v[65:66]
	v_fma_f64 v[90:91], v[77:78], s[10:11], v[94:95]
	;; [unrolled: 1-line block ×3, first 2 shown]
	v_add_f64_e32 v[65:66], v[96:97], v[100:101]
	v_add_f64_e32 v[77:78], v[98:99], v[102:103]
	s_delay_alu instid0(VALU_DEP_2) | instskip(NEXT) | instid1(VALU_DEP_2)
	v_fma_f64 v[65:66], v[65:66], -0.5, v[5:6]
	v_fma_f64 v[77:78], v[77:78], -0.5, v[7:8]
	v_add_f64_e32 v[7:8], v[7:8], v[98:99]
	v_add_f64_e32 v[5:6], v[5:6], v[96:97]
	v_add_f64_e64 v[98:99], v[98:99], -v[102:103]
	s_delay_alu instid0(VALU_DEP_3) | instskip(NEXT) | instid1(VALU_DEP_3)
	v_add_f64_e32 v[7:8], v[7:8], v[102:103]
	v_add_f64_e32 v[5:6], v[5:6], v[100:101]
	v_add_f64_e64 v[102:103], v[96:97], -v[100:101]
	s_delay_alu instid0(VALU_DEP_4) | instskip(SKIP_2) | instid1(VALU_DEP_1)
	v_fma_f64 v[96:97], v[98:99], s[0:1], v[65:66]
	v_fma_f64 v[100:101], v[98:99], s[10:11], v[65:66]
	v_lshrrev_b32_e32 v65, 2, v210
	v_mul_u32_u24_e32 v65, 12, v65
	s_delay_alu instid0(VALU_DEP_1) | instskip(NEXT) | instid1(VALU_DEP_1)
	v_or_b32_e32 v65, v65, v4
	v_lshlrev_b32_e32 v65, 4, v65
	ds_store_b128 v65, v[0:3]
	ds_store_b128 v65, v[13:16] offset:64
	v_lshrrev_b32_e32 v0, 2, v171
	scratch_store_b32 off, v65, off offset:576 ; 4-byte Folded Spill
	ds_store_b128 v65, v[17:20] offset:128
	v_lshrrev_b32_e32 v1, 2, v71
	v_lshrrev_b32_e32 v2, 2, v72
	v_mul_u32_u24_e32 v0, 12, v0
	s_delay_alu instid0(VALU_DEP_3) | instskip(NEXT) | instid1(VALU_DEP_3)
	v_mul_u32_u24_e32 v1, 12, v1
	v_mul_u32_u24_e32 v2, 12, v2
	s_delay_alu instid0(VALU_DEP_3) | instskip(NEXT) | instid1(VALU_DEP_3)
	v_or_b32_e32 v0, v0, v4
	v_or_b32_e32 v1, v1, v4
	v_fma_f64 v[98:99], v[102:103], s[10:11], v[77:78]
	s_delay_alu instid0(VALU_DEP_3)
	v_lshlrev_b32_e32 v0, 4, v0
	ds_store_b128 v0, v[9:12]
	ds_store_b128 v0, v[21:24] offset:64
	scratch_store_b32 off, v0, off offset:572 ; 4-byte Folded Spill
	ds_store_b128 v0, v[25:28] offset:128
	v_lshrrev_b32_e32 v0, 2, v68
	v_fma_f64 v[102:103], v[102:103], s[0:1], v[77:78]
	v_or_b32_e32 v2, v2, v4
	s_mov_b32 s0, 0x36b3c0b5
	s_mov_b32 s1, 0x3fac98ee
	v_mul_u32_u24_e32 v0, 12, v0
	s_mov_b32 s10, 0x37c3f68c
	v_lshlrev_b32_e32 v2, 4, v2
	s_mov_b32 s11, 0x3fdc38aa
	s_delay_alu instid0(VALU_DEP_2) | instskip(NEXT) | instid1(VALU_DEP_1)
	v_or_b32_e32 v0, v0, v4
	v_lshlrev_b32_e32 v0, 4, v0
	ds_store_b128 v0, v[29:32]
	ds_store_b128 v0, v[37:40] offset:64
	scratch_store_b32 off, v0, off offset:568 ; 4-byte Folded Spill
	ds_store_b128 v0, v[41:44] offset:128
	v_lshrrev_b32_e32 v0, 2, v69
	s_delay_alu instid0(VALU_DEP_1) | instskip(NEXT) | instid1(VALU_DEP_1)
	v_mul_u32_u24_e32 v0, 12, v0
	v_or_b32_e32 v0, v0, v4
	s_delay_alu instid0(VALU_DEP_1)
	v_lshlrev_b32_e32 v9, 4, v0
	v_and_b32_e32 v0, 0xff, v210
	ds_store_b128 v9, v[33:36]
	ds_store_b128 v9, v[45:48] offset:64
	v_mul_lo_u16 v0, 0xab, v0
	scratch_store_b32 off, v9, off offset:560 ; 4-byte Folded Spill
	v_lshrrev_b16 v16, 11, v0
	v_lshrrev_b32_e32 v0, 2, v70
	s_delay_alu instid0(VALU_DEP_2) | instskip(NEXT) | instid1(VALU_DEP_2)
	v_mul_lo_u16 v3, v16, 12
	v_mul_u32_u24_e32 v0, 12, v0
	v_and_b32_e32 v16, 0xffff, v16
	s_delay_alu instid0(VALU_DEP_3) | instskip(NEXT) | instid1(VALU_DEP_3)
	v_sub_nc_u16 v3, v210, v3
	v_or_b32_e32 v0, v0, v4
	s_delay_alu instid0(VALU_DEP_3) | instskip(NEXT) | instid1(VALU_DEP_3)
	v_mul_u32_u24_e32 v16, 0x54, v16
	v_and_b32_e32 v17, 0xff, v3
	s_delay_alu instid0(VALU_DEP_3)
	v_lshlrev_b32_e32 v4, 4, v0
	v_lshlrev_b32_e32 v3, 4, v1
	ds_store_b128 v9, v[49:52] offset:128
	ds_store_b128 v4, v[53:56]
	ds_store_b128 v4, v[61:64] offset:64
	v_mad_co_u64_u32 v[0:1], null, 0x60, v17, s[2:3]
	scratch_store_b32 off, v4, off offset:564 ; 4-byte Folded Spill
	ds_store_b128 v4, v[73:76] offset:128
	ds_store_b128 v3, v[57:60]
	ds_store_b128 v3, v[88:91] offset:64
	scratch_store_b32 off, v3, off offset:556 ; 4-byte Folded Spill
	ds_store_b128 v3, v[92:95] offset:128
	ds_store_b128 v2, v[5:8]
	ds_store_b128 v2, v[96:99] offset:64
	scratch_store_b32 off, v2, off offset:552 ; 4-byte Folded Spill
	ds_store_b128 v2, v[100:103] offset:128
	global_wb scope:SCOPE_SE
	s_wait_storecnt_dscnt 0x0
	s_barrier_signal -1
	s_barrier_wait -1
	global_inv scope:SCOPE_SE
	s_clause 0x3
	global_load_b128 v[32:35], v[0:1], off offset:160
	global_load_b128 v[44:47], v[0:1], off offset:176
	;; [unrolled: 1-line block ×4, first 2 shown]
	ds_load_b128 v[2:5], v168 offset:2112
	ds_load_b128 v[6:9], v168 offset:4224
	;; [unrolled: 1-line block ×5, first 2 shown]
	v_add_lshl_u32 v16, v16, v17, 4
	s_wait_loadcnt_dscnt 0x304
	v_mul_f64_e32 v[14:15], v[4:5], v[34:35]
	s_wait_loadcnt_dscnt 0x203
	v_mul_f64_e32 v[28:29], v[8:9], v[46:47]
	v_mul_f64_e32 v[30:31], v[6:7], v[46:47]
	;; [unrolled: 1-line block ×3, first 2 shown]
	s_clause 0x1
	scratch_store_b128 off, v[32:35], off offset:344
	scratch_store_b128 off, v[44:47], off offset:360
	s_wait_loadcnt 0x1
	scratch_store_b128 off, v[48:51], off offset:376 ; 16-byte Folded Spill
	v_fma_f64 v[38:39], v[2:3], v[32:33], -v[14:15]
	v_fma_f64 v[42:43], v[6:7], v[44:45], -v[28:29]
	v_fma_f64 v[44:45], v[8:9], v[44:45], v[30:31]
	s_wait_dscnt 0x0
	v_mul_f64_e32 v[6:7], v[20:21], v[50:51]
	v_mul_f64_e32 v[8:9], v[18:19], v[50:51]
	v_fma_f64 v[40:41], v[4:5], v[32:33], v[26:27]
	ds_load_b128 v[2:5], v168 offset:13376
	v_fma_f64 v[46:47], v[18:19], v[48:49], -v[6:7]
	v_fma_f64 v[48:49], v[20:21], v[48:49], v[8:9]
	ds_load_b128 v[6:9], v168 offset:10560
	ds_load_b128 v[26:29], v168 offset:9856
	s_wait_loadcnt 0x0
	scratch_store_b128 off, v[52:55], off offset:392 ; 16-byte Folded Spill
	s_wait_dscnt 0x1
	v_mul_f64_e32 v[14:15], v[8:9], v[54:55]
	s_delay_alu instid0(VALU_DEP_1) | instskip(SKIP_1) | instid1(VALU_DEP_1)
	v_fma_f64 v[50:51], v[6:7], v[52:53], -v[14:15]
	v_mul_f64_e32 v[6:7], v[6:7], v[54:55]
	v_fma_f64 v[52:53], v[8:9], v[52:53], v[6:7]
	v_and_b32_e32 v6, 0xff, v171
	s_delay_alu instid0(VALU_DEP_1) | instskip(NEXT) | instid1(VALU_DEP_1)
	v_mul_lo_u16 v6, 0xab, v6
	v_lshrrev_b16 v18, 11, v6
	s_delay_alu instid0(VALU_DEP_1) | instskip(NEXT) | instid1(VALU_DEP_1)
	v_mul_lo_u16 v6, v18, 12
	v_sub_nc_u16 v6, v171, v6
	s_delay_alu instid0(VALU_DEP_1) | instskip(NEXT) | instid1(VALU_DEP_1)
	v_and_b32_e32 v19, 0xff, v6
	v_mad_co_u64_u32 v[14:15], null, 0x60, v19, s[2:3]
	s_clause 0x1
	global_load_b128 v[56:59], v[14:15], off offset:160
	global_load_b128 v[34:37], v[14:15], off offset:176
	ds_load_b128 v[6:9], v168 offset:2816
	ds_load_b128 v[30:33], v168 offset:3520
	s_wait_loadcnt_dscnt 0x101
	v_mul_f64_e32 v[20:21], v[8:9], v[58:59]
	scratch_store_b128 off, v[56:59], off offset:580 ; 16-byte Folded Spill
	s_wait_loadcnt 0x0
	scratch_store_b128 off, v[34:37], off offset:508 ; 16-byte Folded Spill
	v_fma_f64 v[54:55], v[6:7], v[56:57], -v[20:21]
	v_mul_f64_e32 v[6:7], v[6:7], v[58:59]
	s_delay_alu instid0(VALU_DEP_1) | instskip(SKIP_1) | instid1(VALU_DEP_1)
	v_fma_f64 v[56:57], v[8:9], v[56:57], v[6:7]
	v_mul_f64_e32 v[6:7], v[12:13], v[36:37]
	v_fma_f64 v[58:59], v[10:11], v[34:35], -v[6:7]
	v_mul_f64_e32 v[6:7], v[10:11], v[36:37]
	s_delay_alu instid0(VALU_DEP_1)
	v_fma_f64 v[60:61], v[12:13], v[34:35], v[6:7]
	s_clause 0x1
	global_load_b128 v[8:11], v[14:15], off offset:240
	global_load_b128 v[34:37], v[14:15], off offset:224
	s_wait_loadcnt 0x1
	v_mul_f64_e32 v[6:7], v[4:5], v[10:11]
	scratch_store_b128 off, v[8:11], off offset:596 ; 16-byte Folded Spill
	v_fma_f64 v[62:63], v[2:3], v[8:9], -v[6:7]
	v_mul_f64_e32 v[2:3], v[2:3], v[10:11]
	s_delay_alu instid0(VALU_DEP_1)
	v_fma_f64 v[64:65], v[4:5], v[8:9], v[2:3]
	ds_load_b128 v[2:5], v168 offset:11264
	ds_load_b128 v[6:9], v168 offset:11968
	s_wait_loadcnt 0x0
	scratch_store_b128 off, v[34:37], off offset:524 ; 16-byte Folded Spill
	s_wait_dscnt 0x1
	v_mul_f64_e32 v[10:11], v[4:5], v[36:37]
	v_add_f64_e32 v[140:141], v[56:57], v[64:65]
	v_add_f64_e64 v[56:57], v[56:57], -v[64:65]
	s_delay_alu instid0(VALU_DEP_3) | instskip(SKIP_1) | instid1(VALU_DEP_1)
	v_fma_f64 v[66:67], v[2:3], v[34:35], -v[10:11]
	v_mul_f64_e32 v[2:3], v[2:3], v[36:37]
	v_fma_f64 v[69:70], v[4:5], v[34:35], v[2:3]
	s_clause 0x1
	global_load_b128 v[34:37], v[0:1], off offset:192
	global_load_b128 v[88:91], v[0:1], off offset:208
	ds_load_b128 v[0:3], v168 offset:6336
	ds_load_b128 v[10:13], v168 offset:5632
	v_add_f64_e32 v[142:143], v[60:61], v[69:70]
	s_wait_loadcnt_dscnt 0x101
	v_mul_f64_e32 v[4:5], v[2:3], v[36:37]
	scratch_store_b128 off, v[34:37], off offset:612 ; 16-byte Folded Spill
	v_fma_f64 v[71:72], v[0:1], v[34:35], -v[4:5]
	v_mul_f64_e32 v[0:1], v[0:1], v[36:37]
	s_delay_alu instid0(VALU_DEP_1)
	v_fma_f64 v[73:74], v[2:3], v[34:35], v[0:1]
	ds_load_b128 v[0:3], v168 offset:8448
	ds_load_b128 v[34:37], v168 offset:9152
	s_wait_loadcnt 0x0
	scratch_store_b128 off, v[88:91], off offset:492 ; 16-byte Folded Spill
	s_wait_dscnt 0x1
	v_mul_f64_e32 v[4:5], v[2:3], v[90:91]
	s_delay_alu instid0(VALU_DEP_1) | instskip(SKIP_1) | instid1(VALU_DEP_1)
	v_fma_f64 v[75:76], v[0:1], v[88:89], -v[4:5]
	v_mul_f64_e32 v[0:1], v[0:1], v[90:91]
	v_fma_f64 v[77:78], v[2:3], v[88:89], v[0:1]
	v_and_b32_e32 v0, 0xff, v68
	s_delay_alu instid0(VALU_DEP_1) | instskip(NEXT) | instid1(VALU_DEP_1)
	v_mul_lo_u16 v0, 0xab, v0
	v_lshrrev_b16 v20, 11, v0
	s_delay_alu instid0(VALU_DEP_1) | instskip(NEXT) | instid1(VALU_DEP_1)
	v_mul_lo_u16 v0, v20, 12
	v_sub_nc_u16 v0, v68, v0
	s_delay_alu instid0(VALU_DEP_1) | instskip(NEXT) | instid1(VALU_DEP_1)
	v_and_b32_e32 v21, 0xff, v0
	v_mad_co_u64_u32 v[88:89], null, 0x60, v21, s[2:3]
	s_clause 0x1
	global_load_b128 v[196:199], v[88:89], off offset:160
	global_load_b128 v[2:5], v[88:89], off offset:176
	v_add_f64_e32 v[128:129], v[73:74], v[77:78]
	s_wait_loadcnt 0x1
	v_mul_f64_e32 v[0:1], v[32:33], v[198:199]
	s_wait_loadcnt 0x0
	scratch_store_b128 off, v[2:5], off offset:676 ; 16-byte Folded Spill
	s_clause 0x1
	global_load_b128 v[200:203], v[88:89], off offset:240
	global_load_b128 v[188:191], v[88:89], off offset:224
	v_fma_f64 v[90:91], v[30:31], v[196:197], -v[0:1]
	v_mul_f64_e32 v[0:1], v[30:31], v[198:199]
	s_delay_alu instid0(VALU_DEP_1) | instskip(SKIP_1) | instid1(VALU_DEP_1)
	v_fma_f64 v[92:93], v[32:33], v[196:197], v[0:1]
	v_mul_f64_e32 v[0:1], v[12:13], v[4:5]
	v_fma_f64 v[94:95], v[10:11], v[2:3], -v[0:1]
	v_mul_f64_e32 v[0:1], v[10:11], v[4:5]
	s_delay_alu instid0(VALU_DEP_1)
	v_fma_f64 v[100:101], v[12:13], v[2:3], v[0:1]
	ds_load_b128 v[0:3], v168 offset:14080
	s_clause 0x1
	global_load_b128 v[30:33], v[14:15], off offset:192
	global_load_b128 v[10:13], v[14:15], off offset:208
	s_wait_loadcnt_dscnt 0x300
	v_mul_f64_e32 v[4:5], v[2:3], v[202:203]
	s_delay_alu instid0(VALU_DEP_1) | instskip(SKIP_1) | instid1(VALU_DEP_1)
	v_fma_f64 v[102:103], v[0:1], v[200:201], -v[4:5]
	v_mul_f64_e32 v[0:1], v[0:1], v[202:203]
	v_fma_f64 v[112:113], v[2:3], v[200:201], v[0:1]
	s_wait_loadcnt 0x2
	v_mul_f64_e32 v[0:1], v[8:9], v[190:191]
	s_delay_alu instid0(VALU_DEP_2) | instskip(NEXT) | instid1(VALU_DEP_2)
	v_add_f64_e32 v[152:153], v[92:93], v[112:113]
	v_fma_f64 v[114:115], v[6:7], v[188:189], -v[0:1]
	v_mul_f64_e32 v[0:1], v[6:7], v[190:191]
	s_delay_alu instid0(VALU_DEP_1)
	v_fma_f64 v[116:117], v[8:9], v[188:189], v[0:1]
	ds_load_b128 v[0:3], v168 offset:7040
	ds_load_b128 v[4:7], v168 offset:7744
	s_wait_loadcnt 0x1
	scratch_store_b128 off, v[30:33], off offset:644 ; 16-byte Folded Spill
	s_wait_loadcnt 0x0
	scratch_store_b128 off, v[10:13], off offset:628 ; 16-byte Folded Spill
	s_wait_dscnt 0x1
	v_mul_f64_e32 v[8:9], v[2:3], v[32:33]
	v_add_f64_e32 v[154:155], v[100:101], v[116:117]
	s_delay_alu instid0(VALU_DEP_2) | instskip(SKIP_2) | instid1(VALU_DEP_2)
	v_fma_f64 v[118:119], v[0:1], v[30:31], -v[8:9]
	v_mul_f64_e32 v[0:1], v[0:1], v[32:33]
	v_add_f64_e32 v[32:33], v[71:72], v[75:76]
	v_fma_f64 v[120:121], v[2:3], v[30:31], v[0:1]
	v_mul_f64_e32 v[0:1], v[36:37], v[12:13]
	v_add_f64_e32 v[30:31], v[38:39], v[46:47]
	v_add_f64_e64 v[38:39], v[38:39], -v[46:47]
	s_delay_alu instid0(VALU_DEP_3) | instskip(SKIP_3) | instid1(VALU_DEP_4)
	v_fma_f64 v[122:123], v[34:35], v[10:11], -v[0:1]
	v_mul_f64_e32 v[0:1], v[34:35], v[12:13]
	v_add_f64_e32 v[34:35], v[40:41], v[48:49]
	v_add_f64_e64 v[40:41], v[40:41], -v[48:49]
	v_add_f64_e32 v[136:137], v[118:119], v[122:123]
	s_delay_alu instid0(VALU_DEP_4)
	v_fma_f64 v[124:125], v[36:37], v[10:11], v[0:1]
	s_clause 0x1
	global_load_b128 v[192:195], v[88:89], off offset:192
	global_load_b128 v[8:11], v[88:89], off offset:208
	v_add_f64_e32 v[36:37], v[44:45], v[52:53]
	v_add_f64_e32 v[144:145], v[120:121], v[124:125]
	s_wait_loadcnt_dscnt 0x100
	v_mul_f64_e32 v[0:1], v[6:7], v[194:195]
	s_wait_loadcnt 0x0
	scratch_store_b128 off, v[8:11], off offset:660 ; 16-byte Folded Spill
	v_fma_f64 v[88:89], v[4:5], v[192:193], -v[0:1]
	v_mul_f64_e32 v[0:1], v[4:5], v[194:195]
	s_delay_alu instid0(VALU_DEP_1) | instskip(SKIP_1) | instid1(VALU_DEP_1)
	v_fma_f64 v[126:127], v[6:7], v[192:193], v[0:1]
	v_mul_f64_e32 v[0:1], v[28:29], v[10:11]
	v_fma_f64 v[132:133], v[26:27], v[8:9], -v[0:1]
	v_mul_f64_e32 v[0:1], v[26:27], v[10:11]
	v_add_f64_e32 v[26:27], v[42:43], v[50:51]
	s_delay_alu instid0(VALU_DEP_3) | instskip(NEXT) | instid1(VALU_DEP_3)
	v_add_f64_e32 v[148:149], v[88:89], v[132:133]
	v_fma_f64 v[134:135], v[28:29], v[8:9], v[0:1]
	s_delay_alu instid0(VALU_DEP_3)
	v_add_f64_e32 v[0:1], v[26:27], v[30:31]
	v_add_f64_e64 v[46:47], v[26:27], -v[30:31]
	v_add_f64_e64 v[48:49], v[32:33], -v[26:27]
	v_add_f64_e64 v[30:31], v[30:31], -v[32:33]
	v_add_f64_e32 v[156:157], v[126:127], v[134:135]
	v_add_f64_e32 v[28:29], v[32:33], v[0:1]
	;; [unrolled: 1-line block ×3, first 2 shown]
	v_add_f64_e64 v[32:33], v[34:35], -v[128:129]
	s_delay_alu instid0(VALU_DEP_2)
	v_add_f64_e32 v[130:131], v[128:129], v[0:1]
	ds_load_b128 v[0:3], v168
	ds_load_b128 v[4:7], v168 offset:704
	global_wb scope:SCOPE_SE
	s_wait_storecnt_dscnt 0x0
	s_barrier_signal -1
	s_barrier_wait -1
	global_inv scope:SCOPE_SE
	v_add_f64_e32 v[8:9], v[0:1], v[28:29]
	v_add_f64_e32 v[0:1], v[54:55], v[62:63]
	;; [unrolled: 1-line block ×4, first 2 shown]
	s_delay_alu instid0(VALU_DEP_4) | instskip(NEXT) | instid1(VALU_DEP_3)
	v_fma_f64 v[206:207], v[28:29], s[14:15], v[8:9]
	v_fma_f64 v[130:131], v[130:131], s[14:15], v[10:11]
	s_delay_alu instid0(VALU_DEP_3) | instskip(NEXT) | instid1(VALU_DEP_1)
	v_add_f64_e32 v[12:13], v[2:3], v[0:1]
	v_add_f64_e32 v[138:139], v[136:137], v[12:13]
	;; [unrolled: 1-line block ×3, first 2 shown]
	s_delay_alu instid0(VALU_DEP_1) | instskip(NEXT) | instid1(VALU_DEP_3)
	v_add_f64_e32 v[146:147], v[144:145], v[12:13]
	v_add_f64_e32 v[12:13], v[4:5], v[138:139]
	;; [unrolled: 1-line block ×3, first 2 shown]
	s_delay_alu instid0(VALU_DEP_3) | instskip(SKIP_1) | instid1(VALU_DEP_1)
	v_add_f64_e32 v[14:15], v[6:7], v[146:147]
	v_add_f64_e32 v[6:7], v[94:95], v[114:115]
	v_add_f64_e32 v[96:97], v[6:7], v[4:5]
	s_delay_alu instid0(VALU_DEP_1) | instskip(SKIP_1) | instid1(VALU_DEP_1)
	v_add_f64_e32 v[150:151], v[148:149], v[96:97]
	v_add_f64_e32 v[96:97], v[154:155], v[152:153]
	;; [unrolled: 1-line block ×3, first 2 shown]
	s_delay_alu instid0(VALU_DEP_3)
	v_add_f64_e32 v[96:97], v[22:23], v[150:151]
	v_add_f64_e64 v[22:23], v[42:43], -v[50:51]
	v_add_f64_e64 v[42:43], v[75:76], -v[71:72]
	;; [unrolled: 1-line block ×3, first 2 shown]
	v_add_f64_e32 v[98:99], v[24:25], v[158:159]
	v_add_f64_e64 v[24:25], v[44:45], -v[52:53]
	v_add_f64_e64 v[44:45], v[77:78], -v[73:74]
	;; [unrolled: 1-line block ×4, first 2 shown]
	v_add_f64_e32 v[26:27], v[42:43], v[22:23]
	v_add_f64_e64 v[71:72], v[22:23], -v[38:39]
	v_add_f64_e64 v[75:76], v[24:25], -v[40:41]
	;; [unrolled: 1-line block ×3, first 2 shown]
	v_add_f64_e32 v[73:74], v[44:45], v[24:25]
	v_mul_f64_e32 v[77:78], s[20:21], v[36:37]
	v_add_f64_e32 v[204:205], v[26:27], v[38:39]
	v_add_f64_e64 v[38:39], v[38:39], -v[42:43]
	v_mul_f64_e32 v[34:35], s[12:13], v[71:72]
	v_mul_f64_e32 v[42:43], s[24:25], v[30:31]
	s_wait_alu 0xfffe
	v_mul_f64_e32 v[24:25], s[0:1], v[52:53]
	v_mul_f64_e32 v[169:170], s[20:21], v[22:23]
	;; [unrolled: 1-line block ×3, first 2 shown]
	v_fma_f64 v[26:27], v[71:72], s[12:13], -v[77:78]
	v_add_f64_e32 v[73:74], v[73:74], v[40:41]
	v_add_f64_e64 v[40:41], v[40:41], -v[44:45]
	v_mul_f64_e32 v[44:45], s[24:25], v[32:33]
	v_fma_f64 v[30:31], v[38:39], s[28:29], -v[34:35]
	v_fma_f64 v[34:35], v[46:47], s[26:27], -v[42:43]
	v_fma_f64 v[38:39], v[38:39], s[22:23], v[77:78]
	v_fma_f64 v[24:25], v[50:51], s[18:19], -v[24:25]
	v_fma_f64 v[42:43], v[48:49], s[0:1], v[42:43]
	v_fma_f64 v[78:79], v[146:147], s[14:15], v[14:15]
	v_fma_f64 v[22:23], v[46:47], s[18:19], -v[22:23]
	v_fma_f64 v[28:29], v[204:205], s[10:11], v[26:27]
	v_fma_f64 v[26:27], v[75:76], s[12:13], -v[169:170]
	v_fma_f64 v[46:47], v[204:205], s[10:11], v[30:31]
	v_add_f64_e32 v[34:35], v[34:35], v[206:207]
	v_add_f64_e32 v[208:209], v[24:25], v[130:131]
	;; [unrolled: 1-line block ×4, first 2 shown]
	v_fma_f64 v[26:27], v[73:74], s[10:11], v[26:27]
	s_delay_alu instid0(VALU_DEP_4) | instskip(SKIP_1) | instid1(VALU_DEP_3)
	v_add_f64_e32 v[24:25], v[28:29], v[208:209]
	v_add_f64_e64 v[28:29], v[208:209], -v[28:29]
	v_add_f64_e64 v[22:23], v[36:37], -v[26:27]
	v_add_f64_e32 v[26:27], v[26:27], v[36:37]
	v_mul_f64_e32 v[36:37], s[12:13], v[75:76]
	v_fma_f64 v[76:77], v[138:139], s[14:15], v[12:13]
	s_delay_alu instid0(VALU_DEP_2)
	v_fma_f64 v[32:33], v[40:41], s[28:29], -v[36:37]
	v_fma_f64 v[36:37], v[50:51], s[26:27], -v[44:45]
	v_fma_f64 v[44:45], v[52:53], s[0:1], v[44:45]
	v_fma_f64 v[40:41], v[40:41], s[22:23], v[169:170]
	v_add_f64_e64 v[52:53], v[54:55], -v[62:63]
	v_add_f64_e64 v[54:55], v[124:125], -v[120:121]
	;; [unrolled: 1-line block ×3, first 2 shown]
	v_fma_f64 v[50:51], v[73:74], s[10:11], v[32:33]
	v_add_f64_e32 v[36:37], v[36:37], v[130:131]
	v_add_f64_e32 v[44:45], v[44:45], v[130:131]
	v_fma_f64 v[48:49], v[73:74], s[10:11], v[40:41]
	s_delay_alu instid0(VALU_DEP_4) | instskip(NEXT) | instid1(VALU_DEP_4)
	v_add_f64_e32 v[30:31], v[50:51], v[34:35]
	v_add_f64_e64 v[32:33], v[36:37], -v[46:47]
	v_add_f64_e32 v[36:37], v[46:47], v[36:37]
	v_fma_f64 v[46:47], v[204:205], s[10:11], v[38:39]
	v_add_f64_e64 v[34:35], v[34:35], -v[50:51]
	v_add_f64_e64 v[50:51], v[122:123], -v[118:119]
	v_add_f64_e32 v[38:39], v[48:49], v[42:43]
	v_add_f64_e64 v[42:43], v[42:43], -v[48:49]
	v_add_f64_e64 v[48:49], v[60:61], -v[69:70]
	;; [unrolled: 1-line block ×4, first 2 shown]
	v_add_f64_e32 v[44:45], v[46:47], v[44:45]
	v_add_f64_e64 v[46:47], v[58:59], -v[66:67]
	v_add_f64_e64 v[58:59], v[2:3], -v[0:1]
	;; [unrolled: 1-line block ×3, first 2 shown]
	v_add_f64_e32 v[70:71], v[54:55], v[48:49]
	v_add_f64_e64 v[72:73], v[48:49], -v[56:57]
	v_add_f64_e64 v[0:1], v[0:1], -v[136:137]
	ds_store_b128 v16, v[8:11]
	ds_store_b128 v16, v[38:41] offset:192
	ds_store_b128 v16, v[30:33] offset:384
	;; [unrolled: 1-line block ×5, first 2 shown]
	v_and_b32_e32 v8, 0xffff, v18
	scratch_store_b32 off, v16, off offset:548 ; 4-byte Folded Spill
	v_add_f64_e64 v[66:67], v[50:51], -v[46:47]
	v_add_f64_e32 v[64:65], v[50:51], v[46:47]
	v_add_f64_e64 v[68:69], v[46:47], -v[52:53]
	v_add_f64_e64 v[46:47], v[54:55], -v[48:49]
	v_mul_f64_e32 v[48:49], s[0:1], v[62:63]
	v_add_f64_e64 v[54:55], v[56:57], -v[54:55]
	v_mul_f64_e32 v[0:1], s[24:25], v[0:1]
	v_add_f64_e32 v[70:71], v[70:71], v[56:57]
	v_mul_u32_u24_e32 v8, 0x54, v8
	ds_store_b128 v16, v[42:45] offset:1152
	v_add_lshl_u32 v9, v8, v19, 4
	v_and_b32_e32 v8, 0xffff, v20
	s_delay_alu instid0(VALU_DEP_1) | instskip(NEXT) | instid1(VALU_DEP_1)
	v_mul_u32_u24_e32 v8, 0x54, v8
	v_add_lshl_u32 v8, v8, v21, 4
	v_mul_f64_e32 v[66:67], s[20:21], v[66:67]
	v_add_f64_e32 v[64:65], v[64:65], v[52:53]
	v_mul_f64_e32 v[74:75], s[20:21], v[46:47]
	v_fma_f64 v[48:49], v[60:61], s[18:19], -v[48:49]
	v_mul_f64_e32 v[46:47], s[0:1], v[2:3]
	v_fma_f64 v[118:119], v[68:69], s[12:13], -v[66:67]
	s_delay_alu instid0(VALU_DEP_4) | instskip(NEXT) | instid1(VALU_DEP_4)
	v_fma_f64 v[120:121], v[72:73], s[12:13], -v[74:75]
	v_add_f64_e32 v[124:125], v[48:49], v[78:79]
	s_delay_alu instid0(VALU_DEP_4)
	v_fma_f64 v[46:47], v[58:59], s[18:19], -v[46:47]
	v_fma_f64 v[58:59], v[58:59], s[26:27], -v[0:1]
	v_fma_f64 v[0:1], v[2:3], s[0:1], v[0:1]
	v_fma_f64 v[118:119], v[64:65], s[10:11], v[118:119]
	v_fma_f64 v[120:121], v[70:71], s[10:11], v[120:121]
	v_add_f64_e32 v[122:123], v[46:47], v[76:77]
	v_add_f64_e32 v[58:59], v[58:59], v[76:77]
	;; [unrolled: 1-line block ×4, first 2 shown]
	v_add_f64_e64 v[250:251], v[124:125], -v[118:119]
	v_add_f64_e64 v[118:119], v[140:141], -v[144:145]
	;; [unrolled: 1-line block ×3, first 2 shown]
	v_mul_f64_e32 v[52:53], s[12:13], v[72:73]
	v_mul_f64_e32 v[50:51], s[12:13], v[68:69]
	v_add_f64_e64 v[46:47], v[122:123], -v[120:121]
	v_add_f64_e32 v[248:249], v[120:121], v[122:123]
	v_mul_f64_e32 v[56:57], s[24:25], v[118:119]
	v_fma_f64 v[52:53], v[54:55], s[28:29], -v[52:53]
	v_fma_f64 v[50:51], v[124:125], s[28:29], -v[50:51]
	v_fma_f64 v[54:55], v[54:55], s[22:23], v[74:75]
	s_delay_alu instid0(VALU_DEP_4)
	v_fma_f64 v[60:61], v[60:61], s[26:27], -v[56:57]
	v_fma_f64 v[2:3], v[62:63], s[0:1], v[56:57]
	v_fma_f64 v[72:73], v[70:71], s[10:11], v[52:53]
	v_fma_f64 v[68:69], v[64:65], s[10:11], v[50:51]
	v_add_f64_e64 v[62:63], v[134:135], -v[126:127]
	v_add_f64_e32 v[60:61], v[60:61], v[78:79]
	v_add_f64_e32 v[2:3], v[2:3], v[78:79]
	;; [unrolled: 1-line block ×3, first 2 shown]
	v_add_f64_e64 v[120:121], v[58:59], -v[72:73]
	v_fma_f64 v[58:59], v[124:125], s[22:23], v[66:67]
	v_add_f64_e64 v[66:67], v[6:7], -v[4:5]
	v_add_f64_e64 v[6:7], v[148:149], -v[6:7]
	;; [unrolled: 1-line block ×4, first 2 shown]
	v_add_f64_e32 v[122:123], v[68:69], v[60:61]
	v_fma_f64 v[60:61], v[70:71], s[10:11], v[54:55]
	v_add_f64_e64 v[70:71], v[156:157], -v[154:155]
	v_fma_f64 v[58:59], v[64:65], s[10:11], v[58:59]
	v_add_f64_e64 v[64:65], v[92:93], -v[112:113]
	v_fma_f64 v[92:93], v[150:151], s[14:15], v[96:97]
	v_mul_f64_e32 v[4:5], s[24:25], v[4:5]
	v_add_f64_e64 v[68:69], v[154:155], -v[152:153]
	v_add_f64_e32 v[54:55], v[60:61], v[0:1]
	v_add_f64_e64 v[128:129], v[0:1], -v[60:61]
	v_add_f64_e64 v[56:57], v[2:3], -v[58:59]
	v_add_f64_e32 v[130:131], v[58:59], v[2:3]
	v_add_f64_e64 v[0:1], v[94:95], -v[114:115]
	v_add_f64_e64 v[2:3], v[132:133], -v[88:89]
	;; [unrolled: 1-line block ×4, first 2 shown]
	v_mul_f64_e32 v[88:89], s[0:1], v[6:7]
	v_mul_f64_e32 v[90:91], s[0:1], v[70:71]
	v_fma_f64 v[94:95], v[158:159], s[14:15], v[98:99]
	ds_store_b128 v9, v[12:15]
	ds_store_b128 v9, v[54:57] offset:192
	ds_store_b128 v9, v[50:53] offset:384
	;; [unrolled: 1-line block ×5, first 2 shown]
	scratch_store_b32 off, v9, off offset:544 ; 4-byte Folded Spill
	v_add_f64_e64 v[74:75], v[2:3], -v[0:1]
	v_add_f64_e32 v[72:73], v[2:3], v[0:1]
	v_add_f64_e64 v[0:1], v[0:1], -v[58:59]
	v_add_f64_e64 v[78:79], v[62:63], -v[60:61]
	v_add_f64_e32 v[76:77], v[62:63], v[60:61]
	v_add_f64_e64 v[60:61], v[60:61], -v[64:65]
	v_fma_f64 v[88:89], v[66:67], s[18:19], -v[88:89]
	v_add_f64_e64 v[62:63], v[64:65], -v[62:63]
	v_fma_f64 v[90:91], v[68:69], s[18:19], -v[90:91]
	v_mul_f64_e32 v[74:75], s[20:21], v[74:75]
	v_add_f64_e32 v[72:73], v[72:73], v[58:59]
	v_add_f64_e64 v[58:59], v[58:59], -v[2:3]
	v_mul_f64_e32 v[78:79], s[20:21], v[78:79]
	v_add_f64_e32 v[76:77], v[76:77], v[64:65]
	v_mul_f64_e32 v[2:3], s[12:13], v[60:61]
	v_add_f64_e32 v[88:89], v[88:89], v[92:93]
	v_fma_f64 v[64:65], v[66:67], s[26:27], -v[4:5]
	v_fma_f64 v[4:5], v[6:7], s[0:1], v[4:5]
	v_add_f64_e32 v[90:91], v[90:91], v[94:95]
	v_fma_f64 v[100:101], v[0:1], s[12:13], -v[74:75]
	v_mul_f64_e32 v[0:1], s[12:13], v[0:1]
	v_fma_f64 v[2:3], v[62:63], s[28:29], -v[2:3]
	v_fma_f64 v[62:63], v[62:63], s[22:23], v[78:79]
	v_add_f64_e32 v[4:5], v[4:5], v[92:93]
	v_fma_f64 v[112:113], v[72:73], s[10:11], v[100:101]
	v_fma_f64 v[100:101], v[60:61], s[12:13], -v[78:79]
	v_fma_f64 v[0:1], v[58:59], s[28:29], -v[0:1]
	v_fma_f64 v[58:59], v[58:59], s[22:23], v[74:75]
	s_delay_alu instid0(VALU_DEP_4) | instskip(NEXT) | instid1(VALU_DEP_4)
	v_add_f64_e32 v[102:103], v[112:113], v[90:91]
	v_fma_f64 v[114:115], v[76:77], s[10:11], v[100:101]
	v_add_f64_e64 v[146:147], v[90:91], -v[112:113]
	s_delay_alu instid0(VALU_DEP_4) | instskip(NEXT) | instid1(VALU_DEP_3)
	v_fma_f64 v[58:59], v[72:73], s[10:11], v[58:59]
	v_add_f64_e64 v[100:101], v[88:89], -v[114:115]
	v_add_f64_e32 v[144:145], v[114:115], v[88:89]
	v_add_f64_e64 v[88:89], v[152:153], -v[156:157]
	s_delay_alu instid0(VALU_DEP_1) | instskip(NEXT) | instid1(VALU_DEP_1)
	v_mul_f64_e32 v[60:61], s[24:25], v[88:89]
	v_fma_f64 v[6:7], v[70:71], s[0:1], v[60:61]
	v_fma_f64 v[66:67], v[68:69], s[26:27], -v[60:61]
	v_fma_f64 v[60:61], v[76:77], s[10:11], v[62:63]
	v_fma_f64 v[68:69], v[72:73], s[10:11], v[0:1]
	;; [unrolled: 1-line block ×3, first 2 shown]
	v_add_f64_e32 v[2:3], v[64:65], v[92:93]
	v_cmp_gt_u16_e64 s0, 40, v210
	v_add_f64_e32 v[6:7], v[6:7], v[94:95]
	v_add_f64_e32 v[64:65], v[66:67], v[94:95]
	;; [unrolled: 1-line block ×3, first 2 shown]
	v_add_f64_e64 v[4:5], v[4:5], -v[60:61]
	v_add_f64_e32 v[140:141], v[0:1], v[2:3]
	v_add_f64_e64 v[0:1], v[2:3], -v[0:1]
	v_add_f64_e64 v[134:135], v[6:7], -v[58:59]
	v_add_f64_e32 v[6:7], v[58:59], v[6:7]
	v_add_f64_e64 v[142:143], v[64:65], -v[68:69]
	v_add_f64_e32 v[2:3], v[68:69], v[64:65]
	ds_store_b128 v9, v[128:131] offset:1152
	ds_store_b128 v8, v[96:99]
	ds_store_b128 v8, v[132:135] offset:192
	ds_store_b128 v8, v[140:143] offset:384
	;; [unrolled: 1-line block ×5, first 2 shown]
	scratch_store_b32 off, v8, off offset:540 ; 4-byte Folded Spill
	ds_store_b128 v8, v[4:7] offset:1152
	global_wb scope:SCOPE_SE
	s_wait_storecnt_dscnt 0x0
	s_barrier_signal -1
	s_barrier_wait -1
	global_inv scope:SCOPE_SE
	ds_load_b128 v[252:255], v168
	ds_load_b128 v[20:23], v168 offset:1344
	ds_load_b128 v[12:15], v168 offset:2688
	;; [unrolled: 1-line block ×10, first 2 shown]
	s_and_saveexec_b32 s1, s0
	s_cbranch_execz .LBB0_13
; %bb.12:
	ds_load_b128 v[248:251], v168 offset:704
	ds_load_b128 v[120:123], v168 offset:2048
	;; [unrolled: 1-line block ×11, first 2 shown]
.LBB0_13:
	s_wait_alu 0xfffe
	s_or_b32 exec_lo, exec_lo, s1
	scratch_load_b32 v28, off, off          ; 4-byte Folded Reload
	s_mov_b32 s24, 0xf8bb580b
	s_mov_b32 s14, 0x8eee2c13
	;; [unrolled: 1-line block ×19, first 2 shown]
	s_wait_alu 0xfffe
	s_mov_b32 s30, s20
	s_mov_b32 s37, 0x3fefac9e
	;; [unrolled: 1-line block ×7, first 2 shown]
	s_wait_loadcnt 0x0
	v_mad_co_u64_u32 v[24:25], null, 0xa0, v28, s[2:3]
	s_clause 0x5
	global_load_b128 v[204:207], v[24:25], off offset:1312
	global_load_b128 v[224:227], v[24:25], off offset:1328
	;; [unrolled: 1-line block ×6, first 2 shown]
	s_wait_loadcnt_dscnt 0x509
	v_mul_f64_e32 v[26:27], v[20:21], v[206:207]
	s_delay_alu instid0(VALU_DEP_1) | instskip(SKIP_1) | instid1(VALU_DEP_1)
	v_fma_f64 v[26:27], v[22:23], v[204:205], v[26:27]
	v_mul_f64_e32 v[22:23], v[22:23], v[206:207]
	v_fma_f64 v[20:21], v[20:21], v[204:205], -v[22:23]
	s_wait_loadcnt_dscnt 0x300
	v_mul_f64_e32 v[22:23], v[16:17], v[214:215]
	s_delay_alu instid0(VALU_DEP_1) | instskip(SKIP_1) | instid1(VALU_DEP_2)
	v_fma_f64 v[52:53], v[18:19], v[212:213], v[22:23]
	v_mul_f64_e32 v[18:19], v[18:19], v[214:215]
	v_add_f64_e32 v[34:35], v[26:27], v[52:53]
	s_delay_alu instid0(VALU_DEP_2) | instskip(SKIP_1) | instid1(VALU_DEP_1)
	v_fma_f64 v[54:55], v[16:17], v[212:213], -v[18:19]
	v_mul_f64_e32 v[16:17], v[14:15], v[226:227]
	v_fma_f64 v[58:59], v[12:13], v[224:225], -v[16:17]
	v_mul_f64_e32 v[12:13], v[12:13], v[226:227]
	s_delay_alu instid0(VALU_DEP_1) | instskip(SKIP_2) | instid1(VALU_DEP_1)
	v_fma_f64 v[60:61], v[14:15], v[224:225], v[12:13]
	s_wait_loadcnt 0x2
	v_mul_f64_e32 v[12:13], v[8:9], v[218:219]
	v_fma_f64 v[56:57], v[10:11], v[216:217], v[12:13]
	v_mul_f64_e32 v[10:11], v[10:11], v[218:219]
	s_delay_alu instid0(VALU_DEP_1) | instskip(SKIP_2) | instid1(VALU_DEP_1)
	v_fma_f64 v[62:63], v[8:9], v[216:217], -v[10:11]
	s_wait_loadcnt 0x1
	v_mul_f64_e32 v[8:9], v[238:239], v[230:231]
	v_fma_f64 v[64:65], v[236:237], v[228:229], -v[8:9]
	v_mul_f64_e32 v[8:9], v[236:237], v[230:231]
	s_delay_alu instid0(VALU_DEP_1)
	v_fma_f64 v[66:67], v[238:239], v[228:229], v[8:9]
	s_clause 0x1
	global_load_b128 v[236:239], v[24:25], off offset:1424
	global_load_b128 v[240:243], v[24:25], off offset:1408
	s_wait_loadcnt 0x1
	v_mul_f64_e32 v[8:9], v[222:223], v[238:239]
	s_delay_alu instid0(VALU_DEP_1) | instskip(SKIP_1) | instid1(VALU_DEP_1)
	v_fma_f64 v[68:69], v[220:221], v[236:237], -v[8:9]
	v_mul_f64_e32 v[8:9], v[220:221], v[238:239]
	v_fma_f64 v[70:71], v[222:223], v[236:237], v[8:9]
	v_mul_f64_e32 v[8:9], v[210:211], v[234:235]
	s_delay_alu instid0(VALU_DEP_1) | instskip(SKIP_1) | instid1(VALU_DEP_1)
	v_fma_f64 v[76:77], v[208:209], v[232:233], -v[8:9]
	v_mul_f64_e32 v[8:9], v[208:209], v[234:235]
	v_fma_f64 v[78:79], v[210:211], v[232:233], v[8:9]
	s_clause 0x1
	global_load_b128 v[208:211], v[24:25], off offset:1376
	global_load_b128 v[220:223], v[24:25], off offset:1392
	s_wait_loadcnt 0x2
	v_mul_f64_e32 v[8:9], v[138:139], v[242:243]
	s_delay_alu instid0(VALU_DEP_1) | instskip(SKIP_1) | instid1(VALU_DEP_1)
	v_fma_f64 v[72:73], v[136:137], v[240:241], -v[8:9]
	v_mul_f64_e32 v[8:9], v[136:137], v[242:243]
	v_fma_f64 v[74:75], v[138:139], v[240:241], v[8:9]
	s_wait_loadcnt 0x1
	v_mul_f64_e32 v[8:9], v[126:127], v[210:211]
	s_delay_alu instid0(VALU_DEP_1) | instskip(SKIP_1) | instid1(VALU_DEP_1)
	v_fma_f64 v[136:137], v[124:125], v[208:209], -v[8:9]
	v_mul_f64_e32 v[8:9], v[124:125], v[210:211]
	v_fma_f64 v[138:139], v[126:127], v[208:209], v[8:9]
	s_wait_loadcnt 0x0
	v_mul_f64_e32 v[8:9], v[90:91], v[222:223]
	s_delay_alu instid0(VALU_DEP_1) | instskip(SKIP_1) | instid1(VALU_DEP_2)
	v_fma_f64 v[124:125], v[88:89], v[220:221], -v[8:9]
	v_mul_f64_e32 v[8:9], v[88:89], v[222:223]
	v_add_f64_e32 v[156:157], v[136:137], v[124:125]
	s_delay_alu instid0(VALU_DEP_2) | instskip(SKIP_2) | instid1(VALU_DEP_2)
	v_fma_f64 v[126:127], v[90:91], v[220:221], v[8:9]
	v_subrev_nc_u32_e32 v8, 40, v28
	v_add_f64_e64 v[154:155], v[136:137], -v[124:125]
	v_cndmask_b32_e64 v8, v8, v171, s0
	s_delay_alu instid0(VALU_DEP_1) | instskip(SKIP_1) | instid1(VALU_DEP_2)
	v_mul_i32_i24_e32 v9, 0xa0, v8
	v_mul_hi_i32_i24_e32 v10, 0xa0, v8
	v_add_co_u32 v8, s1, s2, v9
	s_wait_alu 0xf1ff
	s_delay_alu instid0(VALU_DEP_2)
	v_add_co_ci_u32_e64 v9, s1, s3, v10, s1
	s_clause 0x1
	global_load_b128 v[16:19], v[8:9], off offset:1312
	global_load_b128 v[12:15], v[8:9], off offset:1328
	s_mov_b32 s2, 0xd9c712b6
	s_mov_b32 s3, 0x3fda9628
	v_add_f64_e64 v[152:153], v[138:139], -v[126:127]
	v_add_f64_e32 v[158:159], v[138:139], v[126:127]
	s_wait_loadcnt 0x1
	v_mul_f64_e32 v[10:11], v[122:123], v[18:19]
	scratch_store_b128 off, v[16:19], off offset:776 ; 16-byte Folded Spill
	s_wait_loadcnt 0x0
	scratch_store_b128 off, v[12:15], off offset:708 ; 16-byte Folded Spill
	v_fma_f64 v[48:49], v[120:121], v[16:17], -v[10:11]
	v_mul_f64_e32 v[10:11], v[120:121], v[18:19]
	v_add_f64_e64 v[120:121], v[60:61], -v[56:57]
	s_delay_alu instid0(VALU_DEP_2) | instskip(SKIP_2) | instid1(VALU_DEP_2)
	v_fma_f64 v[50:51], v[122:123], v[16:17], v[10:11]
	v_mul_f64_e32 v[10:11], v[130:131], v[14:15]
	v_add_f64_e32 v[122:123], v[58:59], v[62:63]
	v_fma_f64 v[173:174], v[128:129], v[12:13], -v[10:11]
	v_mul_f64_e32 v[10:11], v[128:129], v[14:15]
	v_add_f64_e32 v[128:129], v[60:61], v[56:57]
	s_delay_alu instid0(VALU_DEP_2)
	v_fma_f64 v[166:167], v[130:131], v[12:13], v[10:11]
	s_clause 0x1
	global_load_b128 v[12:15], v[8:9], off offset:1344
	global_load_b128 v[16:19], v[8:9], off offset:1360
	v_add_f64_e32 v[130:131], v[64:65], v[68:69]
	s_wait_loadcnt 0x1
	v_mul_f64_e32 v[10:11], v[98:99], v[14:15]
	s_wait_loadcnt 0x0
	scratch_store_b128 off, v[16:19], off offset:792 ; 16-byte Folded Spill
	v_fma_f64 v[160:161], v[96:97], v[12:13], -v[10:11]
	v_mul_f64_e32 v[10:11], v[96:97], v[14:15]
	s_delay_alu instid0(VALU_DEP_1) | instskip(SKIP_1) | instid1(VALU_DEP_1)
	v_fma_f64 v[108:109], v[98:99], v[12:13], v[10:11]
	v_mul_f64_e32 v[10:11], v[134:135], v[18:19]
	v_fma_f64 v[169:170], v[132:133], v[16:17], -v[10:11]
	v_mul_f64_e32 v[10:11], v[132:133], v[18:19]
	v_add_f64_e64 v[132:133], v[64:65], -v[68:69]
	s_delay_alu instid0(VALU_DEP_2)
	v_fma_f64 v[10:11], v[134:135], v[16:17], v[10:11]
	scratch_store_b128 off, v[12:15], off offset:760 ; 16-byte Folded Spill
	v_add_f64_e32 v[134:135], v[66:67], v[70:71]
	scratch_store_b64 off, v[10:11], off offset:692 ; 8-byte Folded Spill
	s_clause 0x1
	global_load_b128 v[12:15], v[8:9], off offset:1376
	global_load_b128 v[16:19], v[8:9], off offset:1392
	s_wait_loadcnt 0x1
	v_mul_f64_e32 v[10:11], v[142:143], v[14:15]
	s_wait_loadcnt 0x0
	scratch_store_b128 off, v[16:19], off offset:824 ; 16-byte Folded Spill
	v_fma_f64 v[110:111], v[140:141], v[12:13], -v[10:11]
	v_mul_f64_e32 v[10:11], v[140:141], v[14:15]
	v_add_f64_e64 v[140:141], v[78:79], -v[74:75]
	s_delay_alu instid0(VALU_DEP_2) | instskip(SKIP_4) | instid1(VALU_DEP_1)
	v_fma_f64 v[10:11], v[142:143], v[12:13], v[10:11]
	scratch_store_b128 off, v[12:15], off offset:808 ; 16-byte Folded Spill
	v_add_f64_e32 v[142:143], v[76:77], v[72:73]
	scratch_store_b64 off, v[10:11], off offset:700 ; 8-byte Folded Spill
	v_mul_f64_e32 v[10:11], v[102:103], v[18:19]
	v_fma_f64 v[162:163], v[100:101], v[16:17], -v[10:11]
	v_mul_f64_e32 v[10:11], v[100:101], v[18:19]
	s_delay_alu instid0(VALU_DEP_1)
	v_fma_f64 v[185:186], v[102:103], v[16:17], v[10:11]
	s_clause 0x1
	global_load_b128 v[16:19], v[8:9], off offset:1408
	global_load_b128 v[12:15], v[8:9], off offset:1424
	s_wait_loadcnt 0x1
	v_mul_f64_e32 v[10:11], v[146:147], v[18:19]
	scratch_store_b128 off, v[16:19], off offset:840 ; 16-byte Folded Spill
	s_wait_loadcnt 0x0
	scratch_store_b128 off, v[12:15], off offset:740 ; 16-byte Folded Spill
	v_fma_f64 v[183:184], v[144:145], v[16:17], -v[10:11]
	v_mul_f64_e32 v[10:11], v[144:145], v[18:19]
	v_add_f64_e64 v[144:145], v[76:77], -v[72:73]
	s_delay_alu instid0(VALU_DEP_2) | instskip(SKIP_2) | instid1(VALU_DEP_2)
	v_fma_f64 v[181:182], v[146:147], v[16:17], v[10:11]
	v_mul_f64_e32 v[10:11], v[2:3], v[14:15]
	v_add_f64_e32 v[146:147], v[78:79], v[74:75]
	v_fma_f64 v[179:180], v[0:1], v[12:13], -v[10:11]
	v_mul_f64_e32 v[0:1], v[0:1], v[14:15]
	s_delay_alu instid0(VALU_DEP_1)
	v_fma_f64 v[177:178], v[2:3], v[12:13], v[0:1]
	s_clause 0x1
	global_load_b128 v[10:13], v[8:9], off offset:1440
	global_load_b128 v[14:17], v[8:9], off offset:1456
	s_clause 0x2
	scratch_store_b64 off, v[173:174], off offset:888
	scratch_store_b64 off, v[160:161], off offset:880
	;; [unrolled: 1-line block ×3, first 2 shown]
	s_wait_loadcnt 0x1
	v_mul_f64_e32 v[0:1], v[6:7], v[12:13]
	scratch_store_b128 off, v[10:13], off offset:724 ; 16-byte Folded Spill
	s_wait_loadcnt 0x0
	scratch_store_b128 off, v[14:17], off offset:856 ; 16-byte Folded Spill
	v_fma_f64 v[164:165], v[4:5], v[10:11], -v[0:1]
	v_mul_f64_e32 v[0:1], v[4:5], v[12:13]
	s_delay_alu instid0(VALU_DEP_1) | instskip(SKIP_2) | instid1(VALU_DEP_2)
	v_fma_f64 v[175:176], v[6:7], v[10:11], v[0:1]
	v_mul_f64_e32 v[0:1], v[246:247], v[16:17]
	v_add_f64_e32 v[10:11], v[20:21], v[54:55]
	v_fma_f64 v[171:172], v[244:245], v[14:15], -v[0:1]
	v_mul_f64_e32 v[0:1], v[244:245], v[16:17]
	scratch_store_b64 off, v[171:172], off offset:896 ; 8-byte Folded Spill
	v_fma_f64 v[244:245], v[246:247], v[14:15], v[0:1]
	v_add_f64_e64 v[0:1], v[26:27], -v[52:53]
	s_delay_alu instid0(VALU_DEP_1)
	v_mul_f64_e32 v[2:3], s[24:25], v[0:1]
	v_mul_f64_e32 v[4:5], s[14:15], v[0:1]
	;; [unrolled: 1-line block ×5, first 2 shown]
	v_fma_f64 v[12:13], v[10:11], s[18:19], -v[2:3]
	v_fma_f64 v[2:3], v[10:11], s[18:19], v[2:3]
	s_wait_alu 0xfffe
	v_fma_f64 v[14:15], v[10:11], s[2:3], -v[4:5]
	v_fma_f64 v[4:5], v[10:11], s[2:3], v[4:5]
	v_fma_f64 v[16:17], v[10:11], s[22:23], -v[6:7]
	v_fma_f64 v[6:7], v[10:11], s[22:23], v[6:7]
	;; [unrolled: 2-line block ×4, first 2 shown]
	v_add_f64_e64 v[10:11], v[20:21], -v[54:55]
	v_add_f64_e32 v[12:13], v[252:253], v[12:13]
	v_add_f64_e32 v[14:15], v[252:253], v[14:15]
	;; [unrolled: 1-line block ×8, first 2 shown]
	v_mul_f64_e32 v[24:25], s[24:25], v[10:11]
	v_mul_f64_e32 v[28:29], s[14:15], v[10:11]
	v_mul_f64_e32 v[30:31], s[26:27], v[10:11]
	v_mul_f64_e32 v[32:33], s[28:29], v[10:11]
	v_mul_f64_e32 v[10:11], s[20:21], v[10:11]
	v_fma_f64 v[36:37], v[34:35], s[18:19], v[24:25]
	v_fma_f64 v[38:39], v[34:35], s[2:3], v[28:29]
	v_fma_f64 v[40:41], v[34:35], s[2:3], -v[28:29]
	v_add_f64_e32 v[28:29], v[252:253], v[20:21]
	v_fma_f64 v[42:43], v[34:35], s[22:23], v[30:31]
	v_fma_f64 v[44:45], v[34:35], s[22:23], -v[30:31]
	v_add_f64_e32 v[30:31], v[254:255], v[26:27]
	v_add_f64_e32 v[26:27], v[252:253], v[2:3]
	v_fma_f64 v[88:89], v[34:35], s[12:13], v[10:11]
	v_fma_f64 v[10:11], v[34:35], s[12:13], -v[10:11]
	v_fma_f64 v[24:25], v[34:35], s[18:19], -v[24:25]
	v_fma_f64 v[46:47], v[34:35], s[10:11], v[32:33]
	v_fma_f64 v[32:33], v[34:35], s[10:11], -v[32:33]
	v_add_f64_e32 v[20:21], v[254:255], v[36:37]
	v_add_f64_e32 v[36:37], v[252:253], v[4:5]
	v_mul_f64_e32 v[4:5], s[14:15], v[120:121]
	v_add_f64_e32 v[34:35], v[254:255], v[38:39]
	v_add_f64_e32 v[38:39], v[254:255], v[40:41]
	;; [unrolled: 1-line block ×11, first 2 shown]
	v_fma_f64 v[0:1], v[122:123], s[2:3], -v[4:5]
	v_fma_f64 v[4:5], v[122:123], s[2:3], v[4:5]
	v_add_f64_e32 v[28:29], v[28:29], v[64:65]
	s_delay_alu instid0(VALU_DEP_4) | instskip(NEXT) | instid1(VALU_DEP_4)
	v_add_f64_e32 v[30:31], v[30:31], v[66:67]
	v_add_f64_e32 v[0:1], v[0:1], v[12:13]
	v_add_f64_e64 v[12:13], v[58:59], -v[62:63]
	v_add_f64_e32 v[4:5], v[4:5], v[26:27]
	v_add_f64_e32 v[28:29], v[28:29], v[76:77]
	;; [unrolled: 1-line block ×3, first 2 shown]
	s_delay_alu instid0(VALU_DEP_4) | instskip(NEXT) | instid1(VALU_DEP_3)
	v_mul_f64_e32 v[6:7], s[14:15], v[12:13]
	v_add_f64_e32 v[28:29], v[28:29], v[136:137]
	s_delay_alu instid0(VALU_DEP_3) | instskip(NEXT) | instid1(VALU_DEP_3)
	v_add_f64_e32 v[30:31], v[30:31], v[138:139]
	v_fma_f64 v[2:3], v[128:129], s[2:3], v[6:7]
	v_fma_f64 v[6:7], v[128:129], s[2:3], -v[6:7]
	s_delay_alu instid0(VALU_DEP_4) | instskip(NEXT) | instid1(VALU_DEP_4)
	v_add_f64_e32 v[28:29], v[28:29], v[124:125]
	v_add_f64_e32 v[30:31], v[30:31], v[126:127]
	s_delay_alu instid0(VALU_DEP_4)
	v_add_f64_e32 v[2:3], v[2:3], v[20:21]
	v_add_f64_e64 v[20:21], v[66:67], -v[70:71]
	v_add_f64_e32 v[6:7], v[6:7], v[24:25]
	v_mul_f64_e32 v[24:25], s[28:29], v[120:121]
	v_add_f64_e32 v[28:29], v[28:29], v[72:73]
	v_add_f64_e32 v[30:31], v[30:31], v[74:75]
	v_mul_f64_e32 v[8:9], s[26:27], v[20:21]
	v_mul_f64_e32 v[26:27], s[30:31], v[20:21]
	s_delay_alu instid0(VALU_DEP_4) | instskip(NEXT) | instid1(VALU_DEP_4)
	v_add_f64_e32 v[28:29], v[28:29], v[68:69]
	v_add_f64_e32 v[30:31], v[30:31], v[70:71]
	s_delay_alu instid0(VALU_DEP_4) | instskip(SKIP_1) | instid1(VALU_DEP_4)
	v_fma_f64 v[10:11], v[130:131], s[22:23], -v[8:9]
	v_fma_f64 v[8:9], v[130:131], s[22:23], v[8:9]
	v_add_f64_e32 v[28:29], v[28:29], v[62:63]
	s_delay_alu instid0(VALU_DEP_4) | instskip(NEXT) | instid1(VALU_DEP_4)
	v_add_f64_e32 v[30:31], v[30:31], v[56:57]
	v_add_f64_e32 v[0:1], v[10:11], v[0:1]
	v_mul_f64_e32 v[10:11], s[26:27], v[132:133]
	v_add_f64_e32 v[4:5], v[8:9], v[4:5]
	v_add_f64_e32 v[68:69], v[28:29], v[54:55]
	;; [unrolled: 1-line block ×3, first 2 shown]
	s_delay_alu instid0(VALU_DEP_4) | instskip(SKIP_1) | instid1(VALU_DEP_2)
	v_fma_f64 v[40:41], v[134:135], s[22:23], v[10:11]
	v_fma_f64 v[8:9], v[134:135], s[22:23], -v[10:11]
	v_add_f64_e32 v[2:3], v[40:41], v[2:3]
	v_mul_f64_e32 v[40:41], s[28:29], v[140:141]
	s_delay_alu instid0(VALU_DEP_3) | instskip(NEXT) | instid1(VALU_DEP_2)
	v_add_f64_e32 v[6:7], v[8:9], v[6:7]
	v_fma_f64 v[42:43], v[142:143], s[10:11], -v[40:41]
	v_fma_f64 v[8:9], v[142:143], s[10:11], v[40:41]
	s_delay_alu instid0(VALU_DEP_2) | instskip(SKIP_1) | instid1(VALU_DEP_3)
	v_add_f64_e32 v[0:1], v[42:43], v[0:1]
	v_mul_f64_e32 v[42:43], s[28:29], v[144:145]
	v_add_f64_e32 v[4:5], v[8:9], v[4:5]
	s_delay_alu instid0(VALU_DEP_2) | instskip(SKIP_1) | instid1(VALU_DEP_2)
	v_fma_f64 v[44:45], v[146:147], s[10:11], v[42:43]
	v_fma_f64 v[8:9], v[146:147], s[10:11], -v[42:43]
	v_add_f64_e32 v[2:3], v[44:45], v[2:3]
	v_mul_f64_e32 v[44:45], s[20:21], v[152:153]
	s_delay_alu instid0(VALU_DEP_3) | instskip(NEXT) | instid1(VALU_DEP_2)
	v_add_f64_e32 v[6:7], v[8:9], v[6:7]
	v_fma_f64 v[46:47], v[156:157], s[12:13], -v[44:45]
	v_fma_f64 v[8:9], v[156:157], s[12:13], v[44:45]
	s_delay_alu instid0(VALU_DEP_2) | instskip(SKIP_1) | instid1(VALU_DEP_3)
	v_add_f64_e32 v[0:1], v[46:47], v[0:1]
	v_mul_f64_e32 v[46:47], s[20:21], v[154:155]
	v_add_f64_e32 v[4:5], v[8:9], v[4:5]
	v_fma_f64 v[8:9], v[122:123], s[10:11], -v[24:25]
	v_fma_f64 v[24:25], v[122:123], s[10:11], v[24:25]
	s_delay_alu instid0(VALU_DEP_4) | instskip(SKIP_1) | instid1(VALU_DEP_4)
	v_fma_f64 v[10:11], v[158:159], s[12:13], -v[46:47]
	v_fma_f64 v[112:113], v[158:159], s[12:13], v[46:47]
	v_add_f64_e32 v[8:9], v[8:9], v[14:15]
	v_mul_f64_e32 v[14:15], s[28:29], v[12:13]
	v_add_f64_e32 v[24:25], v[24:25], v[36:37]
	v_add_f64_e32 v[6:7], v[10:11], v[6:7]
	;; [unrolled: 1-line block ×3, first 2 shown]
	s_delay_alu instid0(VALU_DEP_4) | instskip(SKIP_1) | instid1(VALU_DEP_2)
	v_fma_f64 v[10:11], v[128:129], s[10:11], v[14:15]
	v_fma_f64 v[14:15], v[128:129], s[10:11], -v[14:15]
	v_add_f64_e32 v[10:11], v[10:11], v[34:35]
	v_fma_f64 v[34:35], v[130:131], s[12:13], -v[26:27]
	v_fma_f64 v[26:27], v[130:131], s[12:13], v[26:27]
	s_delay_alu instid0(VALU_DEP_4) | instskip(NEXT) | instid1(VALU_DEP_3)
	v_add_f64_e32 v[14:15], v[14:15], v[38:39]
	v_add_f64_e32 v[8:9], v[34:35], v[8:9]
	v_mul_f64_e32 v[34:35], s[30:31], v[132:133]
	s_delay_alu instid0(VALU_DEP_4) | instskip(NEXT) | instid1(VALU_DEP_2)
	v_add_f64_e32 v[24:25], v[26:27], v[24:25]
	v_fma_f64 v[40:41], v[134:135], s[12:13], v[34:35]
	v_fma_f64 v[26:27], v[134:135], s[12:13], -v[34:35]
	s_delay_alu instid0(VALU_DEP_2) | instskip(SKIP_1) | instid1(VALU_DEP_3)
	v_add_f64_e32 v[10:11], v[40:41], v[10:11]
	v_mul_f64_e32 v[40:41], s[36:37], v[140:141]
	v_add_f64_e32 v[14:15], v[26:27], v[14:15]
	s_delay_alu instid0(VALU_DEP_2) | instskip(SKIP_1) | instid1(VALU_DEP_2)
	v_fma_f64 v[42:43], v[142:143], s[22:23], -v[40:41]
	v_fma_f64 v[26:27], v[142:143], s[22:23], v[40:41]
	v_add_f64_e32 v[8:9], v[42:43], v[8:9]
	v_mul_f64_e32 v[42:43], s[36:37], v[144:145]
	s_delay_alu instid0(VALU_DEP_3) | instskip(NEXT) | instid1(VALU_DEP_2)
	v_add_f64_e32 v[24:25], v[26:27], v[24:25]
	v_fma_f64 v[44:45], v[146:147], s[22:23], v[42:43]
	v_fma_f64 v[26:27], v[146:147], s[22:23], -v[42:43]
	s_delay_alu instid0(VALU_DEP_2) | instskip(SKIP_1) | instid1(VALU_DEP_3)
	v_add_f64_e32 v[10:11], v[44:45], v[10:11]
	v_mul_f64_e32 v[44:45], s[34:35], v[152:153]
	v_add_f64_e32 v[14:15], v[26:27], v[14:15]
	s_delay_alu instid0(VALU_DEP_2) | instskip(SKIP_1) | instid1(VALU_DEP_2)
	v_fma_f64 v[46:47], v[156:157], s[18:19], -v[44:45]
	v_fma_f64 v[26:27], v[156:157], s[18:19], v[44:45]
	v_add_f64_e32 v[8:9], v[46:47], v[8:9]
	v_mul_f64_e32 v[46:47], s[34:35], v[154:155]
	s_delay_alu instid0(VALU_DEP_3) | instskip(NEXT) | instid1(VALU_DEP_2)
	v_add_f64_e32 v[40:41], v[26:27], v[24:25]
	v_fma_f64 v[34:35], v[158:159], s[18:19], -v[46:47]
	v_fma_f64 v[112:113], v[158:159], s[18:19], v[46:47]
	s_delay_alu instid0(VALU_DEP_2) | instskip(SKIP_2) | instid1(VALU_DEP_4)
	v_add_f64_e32 v[42:43], v[34:35], v[14:15]
	v_mul_f64_e32 v[14:15], s[30:31], v[120:121]
	v_mul_f64_e32 v[34:35], s[38:39], v[20:21]
	v_add_f64_e32 v[10:11], v[112:113], v[10:11]
	v_mul_f64_e32 v[112:113], s[28:29], v[152:153]
	s_delay_alu instid0(VALU_DEP_4) | instskip(NEXT) | instid1(VALU_DEP_4)
	v_fma_f64 v[24:25], v[122:123], s[12:13], -v[14:15]
	v_fma_f64 v[36:37], v[130:131], s[2:3], -v[34:35]
	v_fma_f64 v[14:15], v[122:123], s[12:13], v[14:15]
	s_delay_alu instid0(VALU_DEP_3) | instskip(SKIP_1) | instid1(VALU_DEP_3)
	v_add_f64_e32 v[16:17], v[24:25], v[16:17]
	v_mul_f64_e32 v[24:25], s[30:31], v[12:13]
	v_add_f64_e32 v[14:15], v[14:15], v[92:93]
	s_delay_alu instid0(VALU_DEP_3) | instskip(NEXT) | instid1(VALU_DEP_3)
	v_add_f64_e32 v[16:17], v[36:37], v[16:17]
	v_fma_f64 v[26:27], v[128:129], s[12:13], v[24:25]
	v_mul_f64_e32 v[36:37], s[38:39], v[132:133]
	v_fma_f64 v[24:25], v[128:129], s[12:13], -v[24:25]
	s_delay_alu instid0(VALU_DEP_3) | instskip(NEXT) | instid1(VALU_DEP_3)
	v_add_f64_e32 v[26:27], v[26:27], v[90:91]
	v_fma_f64 v[38:39], v[134:135], s[2:3], v[36:37]
	v_mul_f64_e32 v[90:91], s[24:25], v[144:145]
	s_delay_alu instid0(VALU_DEP_4) | instskip(SKIP_1) | instid1(VALU_DEP_4)
	v_add_f64_e32 v[24:25], v[24:25], v[94:95]
	v_add_f64_e64 v[94:95], v[50:51], -v[244:245]
	v_add_f64_e32 v[26:27], v[38:39], v[26:27]
	v_mul_f64_e32 v[38:39], s[24:25], v[140:141]
	s_delay_alu instid0(VALU_DEP_3) | instskip(NEXT) | instid1(VALU_DEP_2)
	v_mul_f64_e32 v[64:65], s[14:15], v[94:95]
	v_fma_f64 v[44:45], v[142:143], s[18:19], -v[38:39]
	s_delay_alu instid0(VALU_DEP_1) | instskip(SKIP_1) | instid1(VALU_DEP_1)
	v_add_f64_e32 v[16:17], v[44:45], v[16:17]
	v_fma_f64 v[44:45], v[146:147], s[18:19], v[90:91]
	v_add_f64_e32 v[26:27], v[44:45], v[26:27]
	v_fma_f64 v[44:45], v[156:157], s[10:11], -v[112:113]
	s_delay_alu instid0(VALU_DEP_1) | instskip(SKIP_1) | instid1(VALU_DEP_1)
	v_add_f64_e32 v[44:45], v[44:45], v[16:17]
	v_mul_f64_e32 v[16:17], s[28:29], v[154:155]
	v_fma_f64 v[46:47], v[158:159], s[10:11], v[16:17]
	v_fma_f64 v[16:17], v[158:159], s[10:11], -v[16:17]
	s_delay_alu instid0(VALU_DEP_2) | instskip(SKIP_1) | instid1(VALU_DEP_1)
	v_add_f64_e32 v[46:47], v[46:47], v[26:27]
	v_fma_f64 v[26:27], v[130:131], s[2:3], v[34:35]
	v_add_f64_e32 v[14:15], v[26:27], v[14:15]
	v_fma_f64 v[26:27], v[134:135], s[2:3], -v[36:37]
	s_delay_alu instid0(VALU_DEP_1) | instskip(SKIP_1) | instid1(VALU_DEP_1)
	v_add_f64_e32 v[24:25], v[26:27], v[24:25]
	v_fma_f64 v[26:27], v[142:143], s[18:19], v[38:39]
	v_add_f64_e32 v[14:15], v[26:27], v[14:15]
	v_fma_f64 v[26:27], v[146:147], s[18:19], -v[90:91]
	s_delay_alu instid0(VALU_DEP_1) | instskip(SKIP_1) | instid1(VALU_DEP_2)
	v_add_f64_e32 v[24:25], v[26:27], v[24:25]
	v_fma_f64 v[26:27], v[156:157], s[10:11], v[112:113]
	v_add_f64_e32 v[114:115], v[16:17], v[24:25]
	s_delay_alu instid0(VALU_DEP_2) | instskip(SKIP_3) | instid1(VALU_DEP_3)
	v_add_f64_e32 v[112:113], v[26:27], v[14:15]
	v_mul_f64_e32 v[14:15], s[36:37], v[120:121]
	v_mul_f64_e32 v[26:27], s[24:25], v[20:21]
	;; [unrolled: 1-line block ×3, first 2 shown]
	v_fma_f64 v[16:17], v[122:123], s[22:23], -v[14:15]
	s_delay_alu instid0(VALU_DEP_3) | instskip(SKIP_1) | instid1(VALU_DEP_3)
	v_fma_f64 v[34:35], v[130:131], s[18:19], -v[26:27]
	v_fma_f64 v[14:15], v[122:123], s[22:23], v[14:15]
	v_add_f64_e32 v[16:17], v[16:17], v[18:19]
	v_mul_f64_e32 v[18:19], s[36:37], v[12:13]
	s_delay_alu instid0(VALU_DEP_3) | instskip(SKIP_1) | instid1(VALU_DEP_4)
	v_add_f64_e32 v[14:15], v[14:15], v[98:99]
	v_mul_f64_e32 v[12:13], s[34:35], v[12:13]
	v_add_f64_e32 v[16:17], v[34:35], v[16:17]
	s_delay_alu instid0(VALU_DEP_4) | instskip(SKIP_2) | instid1(VALU_DEP_3)
	v_fma_f64 v[24:25], v[128:129], s[22:23], v[18:19]
	v_mul_f64_e32 v[34:35], s[24:25], v[132:133]
	v_fma_f64 v[18:19], v[128:129], s[22:23], -v[18:19]
	v_add_f64_e32 v[24:25], v[24:25], v[96:97]
	s_delay_alu instid0(VALU_DEP_3) | instskip(NEXT) | instid1(VALU_DEP_3)
	v_fma_f64 v[36:37], v[134:135], s[18:19], v[34:35]
	v_add_f64_e32 v[18:19], v[18:19], v[32:33]
	s_delay_alu instid0(VALU_DEP_2) | instskip(SKIP_1) | instid1(VALU_DEP_1)
	v_add_f64_e32 v[24:25], v[36:37], v[24:25]
	v_mul_f64_e32 v[36:37], s[20:21], v[140:141]
	v_fma_f64 v[38:39], v[142:143], s[12:13], -v[36:37]
	s_delay_alu instid0(VALU_DEP_1) | instskip(SKIP_1) | instid1(VALU_DEP_1)
	v_add_f64_e32 v[16:17], v[38:39], v[16:17]
	v_mul_f64_e32 v[38:39], s[20:21], v[144:145]
	v_fma_f64 v[90:91], v[146:147], s[12:13], v[38:39]
	s_delay_alu instid0(VALU_DEP_1) | instskip(SKIP_1) | instid1(VALU_DEP_1)
	v_add_f64_e32 v[24:25], v[90:91], v[24:25]
	v_mul_f64_e32 v[90:91], s[38:39], v[152:153]
	v_fma_f64 v[92:93], v[156:157], s[2:3], -v[90:91]
	s_delay_alu instid0(VALU_DEP_1) | instskip(SKIP_1) | instid1(VALU_DEP_1)
	v_add_f64_e32 v[116:117], v[92:93], v[16:17]
	v_mul_f64_e32 v[16:17], s[38:39], v[154:155]
	v_fma_f64 v[92:93], v[158:159], s[2:3], v[16:17]
	v_fma_f64 v[16:17], v[158:159], s[2:3], -v[16:17]
	s_delay_alu instid0(VALU_DEP_2) | instskip(SKIP_2) | instid1(VALU_DEP_2)
	v_add_f64_e32 v[118:119], v[92:93], v[24:25]
	v_fma_f64 v[24:25], v[130:131], s[18:19], v[26:27]
	v_add_f64_e32 v[92:93], v[48:49], v[171:172]
	v_add_f64_e32 v[14:15], v[24:25], v[14:15]
	v_fma_f64 v[24:25], v[134:135], s[18:19], -v[34:35]
	v_mul_f64_e32 v[34:35], s[26:27], v[154:155]
	s_delay_alu instid0(VALU_DEP_4) | instskip(NEXT) | instid1(VALU_DEP_3)
	v_fma_f64 v[28:29], v[92:93], s[2:3], v[64:65]
	v_add_f64_e32 v[18:19], v[24:25], v[18:19]
	v_fma_f64 v[24:25], v[142:143], s[12:13], v[36:37]
	s_delay_alu instid0(VALU_DEP_3) | instskip(NEXT) | instid1(VALU_DEP_2)
	v_add_f64_e32 v[28:29], v[248:249], v[28:29]
	v_add_f64_e32 v[14:15], v[24:25], v[14:15]
	v_fma_f64 v[24:25], v[146:147], s[12:13], -v[38:39]
	v_add_f64_e64 v[38:39], v[48:49], -v[171:172]
	v_dual_mov_b32 v171, v244 :: v_dual_mov_b32 v172, v245
	s_delay_alu instid0(VALU_DEP_3) | instskip(SKIP_1) | instid1(VALU_DEP_4)
	v_add_f64_e32 v[18:19], v[24:25], v[18:19]
	v_fma_f64 v[24:25], v[156:157], s[2:3], v[90:91]
	v_mul_f64_e32 v[66:67], s[14:15], v[38:39]
	s_delay_alu instid0(VALU_DEP_3) | instskip(NEXT) | instid1(VALU_DEP_3)
	v_add_f64_e32 v[150:151], v[16:17], v[18:19]
	v_add_f64_e32 v[148:149], v[24:25], v[14:15]
	v_mul_f64_e32 v[14:15], s[34:35], v[120:121]
	v_fma_f64 v[18:19], v[128:129], s[18:19], v[12:13]
	v_fma_f64 v[12:13], v[128:129], s[18:19], -v[12:13]
	s_delay_alu instid0(VALU_DEP_3) | instskip(NEXT) | instid1(VALU_DEP_3)
	v_fma_f64 v[16:17], v[122:123], s[18:19], -v[14:15]
	v_add_f64_e32 v[18:19], v[18:19], v[88:89]
	v_fma_f64 v[14:15], v[122:123], s[18:19], v[14:15]
	s_delay_alu instid0(VALU_DEP_4)
	v_add_f64_e32 v[12:13], v[12:13], v[102:103]
	v_add_f64_e32 v[88:89], v[173:174], v[164:165]
	v_add_f64_e32 v[102:103], v[169:170], v[183:184]
	v_add_f64_e32 v[16:17], v[16:17], v[22:23]
	v_fma_f64 v[22:23], v[130:131], s[10:11], -v[20:21]
	v_add_f64_e32 v[14:15], v[14:15], v[100:101]
	s_delay_alu instid0(VALU_DEP_2) | instskip(SKIP_1) | instid1(VALU_DEP_1)
	v_add_f64_e32 v[16:17], v[22:23], v[16:17]
	v_mul_f64_e32 v[22:23], s[28:29], v[132:133]
	v_fma_f64 v[24:25], v[134:135], s[10:11], v[22:23]
	s_delay_alu instid0(VALU_DEP_1) | instskip(SKIP_2) | instid1(VALU_DEP_2)
	v_add_f64_e32 v[18:19], v[24:25], v[18:19]
	v_mul_f64_e32 v[24:25], s[38:39], v[140:141]
	v_add_f64_e64 v[140:141], v[110:111], -v[162:163]
	v_fma_f64 v[26:27], v[142:143], s[2:3], -v[24:25]
	s_delay_alu instid0(VALU_DEP_1) | instskip(SKIP_1) | instid1(VALU_DEP_1)
	v_add_f64_e32 v[16:17], v[26:27], v[16:17]
	v_mul_f64_e32 v[26:27], s[38:39], v[144:145]
	v_fma_f64 v[32:33], v[146:147], s[2:3], v[26:27]
	s_delay_alu instid0(VALU_DEP_1) | instskip(SKIP_1) | instid1(VALU_DEP_1)
	v_add_f64_e32 v[18:19], v[32:33], v[18:19]
	v_mul_f64_e32 v[32:33], s[26:27], v[152:153]
	v_fma_f64 v[36:37], v[156:157], s[22:23], -v[32:33]
	s_delay_alu instid0(VALU_DEP_1) | instskip(SKIP_2) | instid1(VALU_DEP_2)
	v_add_f64_e32 v[152:153], v[36:37], v[16:17]
	v_fma_f64 v[16:17], v[158:159], s[22:23], v[34:35]
	v_add_f64_e32 v[36:37], v[50:51], v[171:172]
	v_add_f64_e32 v[154:155], v[16:17], v[18:19]
	v_fma_f64 v[16:17], v[130:131], s[10:11], v[20:21]
	v_fma_f64 v[18:19], v[134:135], s[10:11], -v[22:23]
	v_fma_f64 v[20:21], v[142:143], s[2:3], v[24:25]
	v_fma_f64 v[22:23], v[146:147], s[2:3], -v[26:27]
	v_add_f64_e64 v[146:147], v[166:167], -v[175:176]
	v_add_f64_e64 v[24:25], v[173:174], -v[164:165]
	v_dual_mov_b32 v173, v175 :: v_dual_mov_b32 v174, v176
	v_dual_mov_b32 v175, v177 :: v_dual_mov_b32 v176, v178
	;; [unrolled: 1-line block ×4, first 2 shown]
	s_delay_alu instid0(VALU_DEP_2)
	v_add_f64_e32 v[132:133], v[160:161], v[177:178]
	v_add_f64_e32 v[14:15], v[16:17], v[14:15]
	;; [unrolled: 1-line block ×3, first 2 shown]
	v_fma_f64 v[16:17], v[156:157], s[22:23], v[32:33]
	v_fma_f64 v[18:19], v[158:159], s[22:23], -v[34:35]
	v_mul_f64_e32 v[32:33], s[24:25], v[94:95]
	v_mul_f64_e32 v[90:91], s[14:15], v[146:147]
	;; [unrolled: 1-line block ×6, first 2 shown]
	v_add_f64_e32 v[14:15], v[20:21], v[14:15]
	v_add_f64_e64 v[20:21], v[160:161], -v[177:178]
	scratch_load_b64 v[160:161], off, off offset:692 ; 8-byte Folded Reload
	v_add_f64_e32 v[12:13], v[22:23], v[12:13]
	v_add_f64_e32 v[22:23], v[166:167], v[173:174]
	v_fma_f64 v[30:31], v[88:89], s[10:11], v[52:53]
	v_add_f64_e32 v[156:157], v[16:17], v[14:15]
	v_fma_f64 v[14:15], v[88:89], s[2:3], v[90:91]
	;; [unrolled: 2-line block ×3, first 2 shown]
	v_fma_f64 v[16:17], v[22:23], s[2:3], -v[26:27]
	v_mul_f64_e32 v[18:19], s[26:27], v[20:21]
	v_fma_f64 v[56:57], v[22:23], s[10:11], -v[54:55]
	v_add_f64_e32 v[30:31], v[30:31], v[28:29]
	v_fma_f64 v[28:29], v[36:37], s[2:3], -v[66:67]
	v_add_f64_e32 v[12:13], v[248:249], v[12:13]
	s_delay_alu instid0(VALU_DEP_2) | instskip(NEXT) | instid1(VALU_DEP_2)
	v_add_f64_e32 v[28:29], v[250:251], v[28:29]
	v_add_f64_e32 v[14:15], v[14:15], v[12:13]
	v_fma_f64 v[12:13], v[36:37], s[18:19], -v[34:35]
	s_delay_alu instid0(VALU_DEP_3) | instskip(NEXT) | instid1(VALU_DEP_2)
	v_add_f64_e32 v[56:57], v[56:57], v[28:29]
	v_add_f64_e32 v[12:13], v[250:251], v[12:13]
	s_delay_alu instid0(VALU_DEP_1) | instskip(SKIP_1) | instid1(VALU_DEP_1)
	v_add_f64_e32 v[96:97], v[16:17], v[12:13]
	v_add_f64_e64 v[12:13], v[108:109], -v[175:176]
	v_mul_f64_e32 v[134:135], s[26:27], v[12:13]
	v_mul_f64_e32 v[28:29], s[30:31], v[12:13]
	s_delay_alu instid0(VALU_DEP_2) | instskip(NEXT) | instid1(VALU_DEP_2)
	v_fma_f64 v[16:17], v[132:133], s[22:23], v[134:135]
	v_fma_f64 v[58:59], v[132:133], s[12:13], v[28:29]
	s_delay_alu instid0(VALU_DEP_2) | instskip(SKIP_1) | instid1(VALU_DEP_3)
	v_add_f64_e32 v[14:15], v[16:17], v[14:15]
	v_add_f64_e32 v[16:17], v[108:109], v[175:176]
	;; [unrolled: 1-line block ×3, first 2 shown]
	v_mul_f64_e32 v[58:59], s[30:31], v[20:21]
	s_wait_loadcnt 0x0
	v_add_f64_e64 v[130:131], v[160:161], -v[179:180]
	v_add_f64_e32 v[142:143], v[160:161], v[179:180]
	v_fma_f64 v[98:99], v[16:17], s[22:23], -v[18:19]
	s_delay_alu instid0(VALU_DEP_4) | instskip(NEXT) | instid1(VALU_DEP_4)
	v_fma_f64 v[60:61], v[16:17], s[12:13], -v[58:59]
	v_mul_f64_e32 v[120:121], s[28:29], v[130:131]
	s_delay_alu instid0(VALU_DEP_3) | instskip(NEXT) | instid1(VALU_DEP_3)
	v_add_f64_e32 v[96:97], v[98:99], v[96:97]
	v_add_f64_e32 v[62:63], v[60:61], v[56:57]
	v_mul_f64_e32 v[56:57], s[36:37], v[130:131]
	s_delay_alu instid0(VALU_DEP_4) | instskip(NEXT) | instid1(VALU_DEP_2)
	v_fma_f64 v[98:99], v[102:103], s[10:11], v[120:121]
	v_fma_f64 v[60:61], v[102:103], s[22:23], v[56:57]
	s_delay_alu instid0(VALU_DEP_2)
	v_add_f64_e32 v[122:123], v[98:99], v[14:15]
	v_add_f64_e64 v[14:15], v[169:170], -v[183:184]
	scratch_load_b64 v[169:170], off, off offset:700 ; 8-byte Folded Reload
	ds_store_b128 v168, v[8:11] offset:2688
	ds_store_b128 v168, v[44:47] offset:4032
	;; [unrolled: 1-line block ×9, first 2 shown]
	ds_store_b128 v168, v[68:71]
	ds_store_b128 v168, v[4:7] offset:13440
	v_add_f64_e32 v[72:73], v[60:61], v[30:31]
	v_mul_f64_e32 v[144:145], s[28:29], v[14:15]
	v_mul_f64_e32 v[60:61], s[36:37], v[14:15]
	s_delay_alu instid0(VALU_DEP_2) | instskip(NEXT) | instid1(VALU_DEP_2)
	v_fma_f64 v[98:99], v[142:143], s[10:11], -v[144:145]
	v_fma_f64 v[30:31], v[142:143], s[22:23], -v[60:61]
	s_delay_alu instid0(VALU_DEP_2) | instskip(SKIP_1) | instid1(VALU_DEP_3)
	v_add_f64_e32 v[246:247], v[98:99], v[96:97]
	v_add_f64_e32 v[96:97], v[110:111], v[162:163]
	;; [unrolled: 1-line block ×3, first 2 shown]
	s_wait_loadcnt 0x0
	v_add_f64_e64 v[100:101], v[169:170], -v[185:186]
	s_delay_alu instid0(VALU_DEP_1) | instskip(SKIP_1) | instid1(VALU_DEP_2)
	v_mul_f64_e32 v[98:99], s[20:21], v[100:101]
	v_mul_f64_e32 v[30:31], s[34:35], v[100:101]
	v_fma_f64 v[128:129], v[96:97], s[12:13], v[98:99]
	s_delay_alu instid0(VALU_DEP_2) | instskip(NEXT) | instid1(VALU_DEP_2)
	v_fma_f64 v[62:63], v[96:97], s[18:19], v[30:31]
	v_add_f64_e32 v[244:245], v[128:129], v[122:123]
	v_add_f64_e32 v[122:123], v[169:170], v[185:186]
	v_mul_f64_e32 v[128:129], s[20:21], v[140:141]
	s_delay_alu instid0(VALU_DEP_1) | instskip(NEXT) | instid1(VALU_DEP_1)
	v_fma_f64 v[252:253], v[122:123], s[12:13], -v[128:129]
	v_add_f64_e32 v[246:247], v[252:253], v[246:247]
	v_add_f64_e32 v[252:253], v[62:63], v[72:73]
	v_mul_f64_e32 v[62:63], s[34:35], v[140:141]
	s_delay_alu instid0(VALU_DEP_1) | instskip(NEXT) | instid1(VALU_DEP_1)
	v_fma_f64 v[72:73], v[122:123], s[18:19], -v[62:63]
	v_add_f64_e32 v[254:255], v[72:73], v[74:75]
	s_and_saveexec_b32 s1, s0
	s_cbranch_execz .LBB0_15
; %bb.14:
	v_mul_f64_e32 v[0:1], s[2:3], v[36:37]
	v_mul_f64_e32 v[4:5], s[12:13], v[36:37]
	;; [unrolled: 1-line block ×3, first 2 shown]
	s_mov_b32 s41, 0x3fe82f19
	s_mov_b32 s40, s28
	v_mul_f64_e32 v[40:41], s[22:23], v[36:37]
	v_mul_f64_e32 v[36:37], s[18:19], v[36:37]
	;; [unrolled: 1-line block ×7, first 2 shown]
	v_add_f64_e32 v[48:49], v[248:249], v[48:49]
	v_add_f64_e32 v[50:51], v[250:251], v[50:51]
	;; [unrolled: 1-line block ×3, first 2 shown]
	v_fma_f64 v[6:7], v[38:39], s[30:31], v[4:5]
	v_fma_f64 v[10:11], v[38:39], s[40:41], v[8:9]
	;; [unrolled: 1-line block ×5, first 2 shown]
	v_add_f64_e32 v[34:35], v[34:35], v[36:37]
	v_mul_f64_e32 v[36:37], s[20:21], v[94:95]
	v_add_f64_e64 v[2:3], v[2:3], -v[64:65]
	v_add_f64_e64 v[32:33], v[68:69], -v[32:33]
	v_fma_f64 v[38:39], v[38:39], s[36:37], v[40:41]
	v_mul_f64_e32 v[40:41], s[28:29], v[94:95]
	v_mul_f64_e32 v[94:95], s[22:23], v[122:123]
	v_fma_f64 v[66:67], v[92:93], s[22:23], -v[44:45]
	v_fma_f64 v[44:45], v[92:93], s[22:23], v[44:45]
	v_add_f64_e32 v[50:51], v[50:51], v[166:167]
	v_add_f64_e32 v[6:7], v[250:251], v[6:7]
	;; [unrolled: 1-line block ×5, first 2 shown]
	v_fma_f64 v[0:1], v[24:25], s[24:25], v[72:73]
	v_add_f64_e32 v[4:5], v[250:251], v[4:5]
	v_fma_f64 v[46:47], v[92:93], s[12:13], v[36:37]
	v_add_f64_e32 v[10:11], v[248:249], v[2:3]
	v_fma_f64 v[36:37], v[92:93], s[12:13], -v[36:37]
	v_fma_f64 v[72:73], v[24:25], s[34:35], v[72:73]
	v_add_f64_e32 v[42:43], v[250:251], v[42:43]
	v_fma_f64 v[64:65], v[92:93], s[10:11], -v[40:41]
	v_add_f64_e32 v[66:67], v[248:249], v[66:67]
	v_fma_f64 v[40:41], v[92:93], s[10:11], v[40:41]
	v_add_f64_e32 v[50:51], v[50:51], v[108:109]
	v_add_f64_e32 v[34:35], v[250:251], v[34:35]
	;; [unrolled: 1-line block ×6, first 2 shown]
	v_mul_f64_e32 v[6:7], s[34:35], v[146:147]
	v_add_f64_e32 v[46:47], v[248:249], v[46:47]
	v_add_f64_e32 v[36:37], v[248:249], v[36:37]
	;; [unrolled: 1-line block ×3, first 2 shown]
	v_mul_f64_e32 v[72:73], s[2:3], v[88:89]
	v_add_f64_e32 v[64:65], v[248:249], v[64:65]
	v_add_f64_e32 v[40:41], v[248:249], v[40:41]
	;; [unrolled: 1-line block ×3, first 2 shown]
	v_fma_f64 v[2:3], v[88:89], s[18:19], v[6:7]
	v_fma_f64 v[6:7], v[88:89], s[18:19], -v[6:7]
	v_add_f64_e64 v[72:73], v[72:73], -v[90:91]
	v_mul_f64_e32 v[90:91], s[20:21], v[130:131]
	v_add_f64_e32 v[50:51], v[50:51], v[169:170]
	v_add_f64_e32 v[2:3], v[2:3], v[46:47]
	v_mul_f64_e32 v[46:47], s[10:11], v[16:17]
	v_add_f64_e32 v[6:7], v[6:7], v[36:37]
	v_add_f64_e32 v[32:33], v[72:73], v[32:33]
	;; [unrolled: 1-line block ×3, first 2 shown]
	s_delay_alu instid0(VALU_DEP_4) | instskip(SKIP_2) | instid1(VALU_DEP_3)
	v_fma_f64 v[74:75], v[20:21], s[40:41], v[46:47]
	v_fma_f64 v[36:37], v[20:21], s[28:29], v[46:47]
	v_fma_f64 v[46:47], v[96:97], s[22:23], -v[112:113]
	v_add_f64_e32 v[0:1], v[74:75], v[0:1]
	v_mul_f64_e32 v[74:75], s[28:29], v[12:13]
	s_delay_alu instid0(VALU_DEP_4) | instskip(NEXT) | instid1(VALU_DEP_2)
	v_add_f64_e32 v[4:5], v[36:37], v[4:5]
	v_fma_f64 v[76:77], v[132:133], s[10:11], v[74:75]
	v_fma_f64 v[36:37], v[132:133], s[10:11], -v[74:75]
	v_mul_f64_e32 v[74:75], s[18:19], v[16:17]
	s_delay_alu instid0(VALU_DEP_3) | instskip(SKIP_1) | instid1(VALU_DEP_4)
	v_add_f64_e32 v[2:3], v[76:77], v[2:3]
	v_mul_f64_e32 v[76:77], s[2:3], v[142:143]
	v_add_f64_e32 v[6:7], v[36:37], v[6:7]
	s_delay_alu instid0(VALU_DEP_2) | instskip(SKIP_3) | instid1(VALU_DEP_4)
	v_fma_f64 v[78:79], v[14:15], s[14:15], v[76:77]
	v_fma_f64 v[36:37], v[14:15], s[38:39], v[76:77]
	;; [unrolled: 1-line block ×4, first 2 shown]
	v_add_f64_e32 v[0:1], v[78:79], v[0:1]
	v_mul_f64_e32 v[78:79], s[38:39], v[130:131]
	v_add_f64_e32 v[4:5], v[36:37], v[4:5]
	s_delay_alu instid0(VALU_DEP_2)
	v_fma_f64 v[36:37], v[102:103], s[2:3], -v[78:79]
	v_fma_f64 v[92:93], v[102:103], s[2:3], v[78:79]
	scratch_load_b64 v[78:79], off, off offset:880 th:TH_LOAD_LU ; 8-byte Folded Reload
	v_add_f64_e32 v[36:37], v[36:37], v[6:7]
	v_fma_f64 v[6:7], v[140:141], s[26:27], v[94:95]
	v_add_f64_e32 v[92:93], v[92:93], v[2:3]
	v_fma_f64 v[2:3], v[140:141], s[36:37], v[94:95]
	v_mul_f64_e32 v[94:95], s[10:11], v[102:103]
	s_delay_alu instid0(VALU_DEP_4)
	v_add_f64_e32 v[6:7], v[6:7], v[4:5]
	v_add_f64_e32 v[4:5], v[46:47], v[36:37]
	v_mul_f64_e32 v[36:37], s[10:11], v[22:23]
	v_mul_f64_e32 v[46:47], s[10:11], v[88:89]
	v_add_f64_e32 v[2:3], v[2:3], v[0:1]
	v_fma_f64 v[0:1], v[96:97], s[22:23], v[112:113]
	v_add_f64_e64 v[94:95], v[94:95], -v[120:121]
	v_add_f64_e32 v[36:37], v[54:55], v[36:37]
	v_add_f64_e64 v[46:47], v[46:47], -v[52:53]
	v_mul_f64_e32 v[52:53], s[12:13], v[16:17]
	v_mul_f64_e32 v[54:55], s[12:13], v[132:133]
	v_add_f64_e32 v[0:1], v[0:1], v[92:93]
	v_fma_f64 v[92:93], v[102:103], s[12:13], -v[90:91]
	v_fma_f64 v[90:91], v[102:103], s[12:13], v[90:91]
	v_add_f64_e32 v[8:9], v[36:37], v[8:9]
	v_add_f64_e32 v[10:11], v[46:47], v[10:11]
	;; [unrolled: 1-line block ×3, first 2 shown]
	v_add_f64_e64 v[28:29], v[54:55], -v[28:29]
	v_mul_f64_e32 v[54:55], s[22:23], v[142:143]
	v_mul_f64_e32 v[58:59], s[22:23], v[102:103]
	;; [unrolled: 1-line block ×5, first 2 shown]
	v_add_f64_e32 v[8:9], v[52:53], v[8:9]
	v_add_f64_e32 v[10:11], v[28:29], v[10:11]
	;; [unrolled: 1-line block ×3, first 2 shown]
	v_add_f64_e64 v[56:57], v[58:59], -v[56:57]
	v_add_f64_e32 v[36:37], v[62:63], v[36:37]
	v_mul_f64_e32 v[28:29], s[18:19], v[96:97]
	v_fma_f64 v[52:53], v[20:21], s[38:39], v[46:47]
	v_mul_f64_e32 v[60:61], s[10:11], v[122:123]
	v_mul_f64_e32 v[62:63], s[28:29], v[100:101]
	v_add_f64_e32 v[16:17], v[18:19], v[16:17]
	v_fma_f64 v[20:21], v[20:21], s[14:15], v[46:47]
	v_add_f64_e32 v[8:9], v[54:55], v[8:9]
	v_add_f64_e64 v[28:29], v[28:29], -v[30:31]
	v_add_f64_e32 v[30:31], v[56:57], v[10:11]
	s_delay_alu instid0(VALU_DEP_3) | instskip(SKIP_1) | instid1(VALU_DEP_3)
	v_add_f64_e32 v[10:11], v[36:37], v[8:9]
	v_mul_f64_e32 v[36:37], s[12:13], v[22:23]
	v_add_f64_e32 v[8:9], v[28:29], v[30:31]
	s_delay_alu instid0(VALU_DEP_2) | instskip(NEXT) | instid1(VALU_DEP_1)
	v_fma_f64 v[28:29], v[24:25], s[30:31], v[36:37]
	v_add_f64_e32 v[28:29], v[28:29], v[42:43]
	v_mul_f64_e32 v[42:43], s[30:31], v[146:147]
	s_delay_alu instid0(VALU_DEP_2) | instskip(NEXT) | instid1(VALU_DEP_2)
	v_add_f64_e32 v[28:29], v[52:53], v[28:29]
	v_fma_f64 v[30:31], v[88:89], s[12:13], -v[42:43]
	v_mul_f64_e32 v[52:53], s[38:39], v[12:13]
	v_fma_f64 v[42:43], v[88:89], s[12:13], v[42:43]
	v_mul_f64_e32 v[12:13], s[24:25], v[12:13]
	s_delay_alu instid0(VALU_DEP_4) | instskip(NEXT) | instid1(VALU_DEP_4)
	v_add_f64_e32 v[30:31], v[30:31], v[66:67]
	v_fma_f64 v[54:55], v[132:133], s[2:3], -v[52:53]
	v_fma_f64 v[46:47], v[132:133], s[2:3], v[52:53]
	s_delay_alu instid0(VALU_DEP_4) | instskip(SKIP_4) | instid1(VALU_DEP_3)
	v_fma_f64 v[18:19], v[132:133], s[18:19], -v[12:13]
	v_fma_f64 v[12:13], v[132:133], s[18:19], v[12:13]
	v_mul_f64_e32 v[52:53], s[22:23], v[132:133]
	v_add_f64_e32 v[30:31], v[54:55], v[30:31]
	v_mul_f64_e32 v[54:55], s[18:19], v[142:143]
	v_add_f64_e64 v[52:53], v[52:53], -v[134:135]
	s_delay_alu instid0(VALU_DEP_2) | instskip(NEXT) | instid1(VALU_DEP_1)
	v_fma_f64 v[56:57], v[14:15], s[24:25], v[54:55]
	v_add_f64_e32 v[28:29], v[56:57], v[28:29]
	v_mul_f64_e32 v[56:57], s[24:25], v[130:131]
	s_delay_alu instid0(VALU_DEP_1) | instskip(SKIP_2) | instid1(VALU_DEP_3)
	v_fma_f64 v[58:59], v[102:103], s[18:19], -v[56:57]
	v_fma_f64 v[56:57], v[102:103], s[18:19], v[56:57]
	v_mul_f64_e32 v[102:103], s[2:3], v[122:123]
	v_add_f64_e32 v[58:59], v[58:59], v[30:31]
	v_fma_f64 v[30:31], v[140:141], s[28:29], v[60:61]
	s_delay_alu instid0(VALU_DEP_3) | instskip(SKIP_2) | instid1(VALU_DEP_4)
	v_fma_f64 v[112:113], v[140:141], s[38:39], v[102:103]
	v_fma_f64 v[102:103], v[140:141], s[14:15], v[102:103]
	;; [unrolled: 1-line block ×3, first 2 shown]
	v_add_f64_e32 v[30:31], v[30:31], v[28:29]
	v_fma_f64 v[28:29], v[96:97], s[10:11], -v[62:63]
	s_delay_alu instid0(VALU_DEP_1)
	v_add_f64_e32 v[28:29], v[28:29], v[58:59]
	scratch_load_b64 v[58:59], off, off offset:888 th:TH_LOAD_LU ; 8-byte Folded Reload
	s_wait_loadcnt 0x0
	v_add_f64_e32 v[48:49], v[48:49], v[58:59]
	v_mul_f64_e32 v[58:59], s[22:23], v[22:23]
	v_mul_f64_e32 v[22:23], s[2:3], v[22:23]
	s_delay_alu instid0(VALU_DEP_3) | instskip(SKIP_1) | instid1(VALU_DEP_3)
	v_add_f64_e32 v[48:49], v[48:49], v[78:79]
	v_mul_f64_e32 v[78:79], s[12:13], v[142:143]
	v_add_f64_e32 v[22:23], v[26:27], v[22:23]
	v_mul_f64_e32 v[26:27], s[36:37], v[146:147]
	v_fma_f64 v[66:67], v[24:25], s[36:37], v[58:59]
	v_fma_f64 v[58:59], v[24:25], s[26:27], v[58:59]
	v_fma_f64 v[24:25], v[24:25], s[20:21], v[36:37]
	v_add_f64_e32 v[22:23], v[22:23], v[34:35]
	v_fma_f64 v[36:37], v[88:89], s[22:23], -v[26:27]
	v_fma_f64 v[26:27], v[88:89], s[22:23], v[26:27]
	v_fma_f64 v[88:89], v[14:15], s[20:21], v[78:79]
	;; [unrolled: 1-line block ×4, first 2 shown]
	scratch_load_b64 v[54:55], off, off offset:872 th:TH_LOAD_LU ; 8-byte Folded Reload
	v_add_f64_e32 v[58:59], v[58:59], v[68:69]
	v_add_f64_e32 v[34:35], v[50:51], v[179:180]
	;; [unrolled: 1-line block ×5, first 2 shown]
	v_mul_f64_e32 v[42:43], s[12:13], v[122:123]
	v_add_f64_e32 v[16:17], v[16:17], v[22:23]
	v_add_f64_e32 v[36:37], v[36:37], v[64:65]
	;; [unrolled: 1-line block ×7, first 2 shown]
	v_mul_f64_e32 v[46:47], s[12:13], v[96:97]
	v_add_f64_e32 v[42:43], v[128:129], v[42:43]
	v_add_f64_e32 v[18:19], v[18:19], v[36:37]
	;; [unrolled: 1-line block ×5, first 2 shown]
	v_mul_f64_e32 v[34:35], s[38:39], v[100:101]
	v_add_f64_e32 v[52:53], v[94:95], v[22:23]
	v_add_f64_e32 v[20:21], v[14:15], v[20:21]
	;; [unrolled: 1-line block ×4, first 2 shown]
	v_add_f64_e64 v[46:47], v[46:47], -v[98:99]
	v_add_f64_e32 v[18:19], v[92:93], v[18:19]
	v_add_f64_e32 v[36:37], v[78:79], v[36:37]
	v_fma_f64 v[38:39], v[96:97], s[2:3], -v[34:35]
	v_fma_f64 v[34:35], v[96:97], s[2:3], v[34:35]
	v_add_f64_e32 v[22:23], v[60:61], v[20:21]
	v_add_f64_e32 v[14:15], v[112:113], v[44:45]
	s_wait_loadcnt 0x0
	v_add_f64_e32 v[48:49], v[48:49], v[54:55]
	v_mul_f64_e32 v[54:55], s[10:11], v[142:143]
	s_delay_alu instid0(VALU_DEP_2) | instskip(NEXT) | instid1(VALU_DEP_2)
	v_add_f64_e32 v[48:49], v[48:49], v[110:111]
	v_add_f64_e32 v[54:55], v[144:145], v[54:55]
	s_delay_alu instid0(VALU_DEP_2) | instskip(NEXT) | instid1(VALU_DEP_2)
	v_add_f64_e32 v[48:49], v[48:49], v[162:163]
	v_add_f64_e32 v[50:51], v[54:55], v[16:17]
	;; [unrolled: 1-line block ×3, first 2 shown]
	s_delay_alu instid0(VALU_DEP_3)
	v_add_f64_e32 v[40:41], v[48:49], v[183:184]
	v_add_f64_e32 v[48:49], v[90:91], v[12:13]
	;; [unrolled: 1-line block ×4, first 2 shown]
	scratch_load_b64 v[36:37], off, off offset:896 th:TH_LOAD_LU ; 8-byte Folded Reload
	v_add_f64_e32 v[26:27], v[42:43], v[50:51]
	v_add_f64_e32 v[32:33], v[40:41], v[177:178]
	v_fma_f64 v[40:41], v[96:97], s[10:11], v[62:63]
	v_add_f64_e32 v[16:17], v[34:35], v[48:49]
	v_add_f64_e32 v[34:35], v[54:55], v[171:172]
	s_delay_alu instid0(VALU_DEP_4) | instskip(NEXT) | instid1(VALU_DEP_4)
	v_add_f64_e32 v[32:33], v[32:33], v[164:165]
	v_add_f64_e32 v[20:21], v[40:41], v[24:25]
	;; [unrolled: 1-line block ×3, first 2 shown]
	s_wait_loadcnt 0x0
	s_delay_alu instid0(VALU_DEP_3)
	v_add_f64_e32 v[32:33], v[32:33], v[36:37]
	ds_store_b128 v168, v[8:11] offset:3392
	ds_store_b128 v168, v[28:31] offset:4736
	;; [unrolled: 1-line block ×11, first 2 shown]
.LBB0_15:
	s_wait_alu 0xfffe
	s_or_b32 exec_lo, exec_lo, s1
	global_wb scope:SCOPE_SE
	s_wait_storecnt_dscnt 0x0
	s_barrier_signal -1
	s_barrier_wait -1
	global_inv scope:SCOPE_SE
	scratch_load_b64 v[0:1], off, off offset:4 ; 8-byte Folded Reload
	s_add_nc_u64 s[2:3], s[16:17], 0x39c0
	s_wait_loadcnt 0x0
	s_clause 0x8
	global_load_b128 v[8:11], v[0:1], off offset:14784
	global_load_b128 v[0:3], v168, s[2:3] offset:7392
	global_load_b128 v[4:7], v168, s[2:3] offset:704
	;; [unrolled: 1-line block ×8, first 2 shown]
	ds_load_b128 v[32:35], v168
	ds_load_b128 v[36:39], v168 offset:704
	global_load_b128 v[40:43], v168, s[2:3] offset:10208
	ds_load_b128 v[44:47], v168 offset:7392
	ds_load_b128 v[48:51], v168 offset:8096
	s_wait_loadcnt_dscnt 0x702
	v_mul_f64_e32 v[54:55], v[38:39], v[6:7]
	s_wait_loadcnt_dscnt 0x600
	v_mul_f64_e32 v[56:57], v[48:49], v[250:251]
	v_mul_f64_e32 v[52:53], v[34:35], v[10:11]
	;; [unrolled: 1-line block ×3, first 2 shown]
	s_delay_alu instid0(VALU_DEP_2) | instskip(SKIP_2) | instid1(VALU_DEP_4)
	v_fma_f64 v[32:33], v[32:33], v[8:9], -v[52:53]
	v_mul_f64_e32 v[52:53], v[46:47], v[2:3]
	v_mul_f64_e32 v[2:3], v[44:45], v[2:3]
	v_fma_f64 v[34:35], v[34:35], v[8:9], v[10:11]
	global_load_b128 v[8:11], v168, s[2:3] offset:6336
	v_fma_f64 v[44:45], v[44:45], v[0:1], -v[52:53]
	v_fma_f64 v[46:47], v[46:47], v[0:1], v[2:3]
	v_mul_f64_e32 v[2:3], v[36:37], v[6:7]
	v_mul_f64_e32 v[52:53], v[50:51], v[250:251]
	v_fma_f64 v[0:1], v[36:37], v[4:5], -v[54:55]
	v_fma_f64 v[50:51], v[50:51], v[248:249], v[56:57]
	s_delay_alu instid0(VALU_DEP_4)
	v_fma_f64 v[2:3], v[38:39], v[4:5], v[2:3]
	ds_load_b128 v[4:7], v168 offset:1408
	ds_load_b128 v[36:39], v168 offset:2112
	v_fma_f64 v[48:49], v[48:49], v[248:249], -v[52:53]
	ds_load_b128 v[52:55], v168 offset:8800
	s_wait_loadcnt_dscnt 0x602
	v_mul_f64_e32 v[58:59], v[6:7], v[14:15]
	v_mul_f64_e32 v[14:15], v[4:5], v[14:15]
	s_delay_alu instid0(VALU_DEP_2) | instskip(NEXT) | instid1(VALU_DEP_2)
	v_fma_f64 v[4:5], v[4:5], v[12:13], -v[58:59]
	v_fma_f64 v[6:7], v[6:7], v[12:13], v[14:15]
	ds_load_b128 v[12:15], v168 offset:9504
	s_wait_loadcnt_dscnt 0x501
	v_mul_f64_e32 v[56:57], v[54:55], v[18:19]
	v_mul_f64_e32 v[18:19], v[52:53], v[18:19]
	s_wait_loadcnt 0x4
	v_mul_f64_e32 v[58:59], v[38:39], v[22:23]
	s_delay_alu instid0(VALU_DEP_3) | instskip(NEXT) | instid1(VALU_DEP_3)
	v_fma_f64 v[52:53], v[52:53], v[16:17], -v[56:57]
	v_fma_f64 v[54:55], v[54:55], v[16:17], v[18:19]
	v_mul_f64_e32 v[18:19], v[36:37], v[22:23]
	s_wait_loadcnt_dscnt 0x300
	v_mul_f64_e32 v[56:57], v[14:15], v[26:27]
	v_mul_f64_e32 v[26:27], v[12:13], v[26:27]
	v_fma_f64 v[16:17], v[36:37], v[20:21], -v[58:59]
	s_delay_alu instid0(VALU_DEP_4)
	v_fma_f64 v[18:19], v[38:39], v[20:21], v[18:19]
	ds_load_b128 v[20:23], v168 offset:2816
	ds_load_b128 v[36:39], v168 offset:3520
	v_fma_f64 v[12:13], v[12:13], v[24:25], -v[56:57]
	v_fma_f64 v[14:15], v[14:15], v[24:25], v[26:27]
	ds_load_b128 v[24:27], v168 offset:10208
	s_wait_loadcnt_dscnt 0x202
	v_mul_f64_e32 v[58:59], v[22:23], v[30:31]
	v_mul_f64_e32 v[30:31], v[20:21], v[30:31]
	s_delay_alu instid0(VALU_DEP_2) | instskip(NEXT) | instid1(VALU_DEP_2)
	v_fma_f64 v[20:21], v[20:21], v[28:29], -v[58:59]
	v_fma_f64 v[22:23], v[22:23], v[28:29], v[30:31]
	ds_load_b128 v[28:31], v168 offset:10912
	s_wait_loadcnt_dscnt 0x101
	v_mul_f64_e32 v[56:57], v[26:27], v[42:43]
	v_mul_f64_e32 v[42:43], v[24:25], v[42:43]
	s_delay_alu instid0(VALU_DEP_2) | instskip(NEXT) | instid1(VALU_DEP_2)
	v_fma_f64 v[24:25], v[24:25], v[40:41], -v[56:57]
	v_fma_f64 v[26:27], v[26:27], v[40:41], v[42:43]
	s_clause 0x1
	global_load_b128 v[40:43], v168, s[2:3] offset:3520
	global_load_b128 v[56:59], v168, s[2:3] offset:4224
	s_wait_loadcnt 0x1
	v_mul_f64_e32 v[60:61], v[38:39], v[42:43]
	v_mul_f64_e32 v[42:43], v[36:37], v[42:43]
	s_delay_alu instid0(VALU_DEP_2) | instskip(NEXT) | instid1(VALU_DEP_2)
	v_fma_f64 v[36:37], v[36:37], v[40:41], -v[60:61]
	v_fma_f64 v[38:39], v[38:39], v[40:41], v[42:43]
	s_clause 0x1
	global_load_b128 v[40:43], v168, s[2:3] offset:10912
	global_load_b128 v[60:63], v168, s[2:3] offset:11616
	s_wait_loadcnt_dscnt 0x100
	v_mul_f64_e32 v[64:65], v[30:31], v[42:43]
	v_mul_f64_e32 v[42:43], v[28:29], v[42:43]
	s_delay_alu instid0(VALU_DEP_2) | instskip(NEXT) | instid1(VALU_DEP_2)
	v_fma_f64 v[28:29], v[28:29], v[40:41], -v[64:65]
	v_fma_f64 v[30:31], v[30:31], v[40:41], v[42:43]
	ds_load_b128 v[40:43], v168 offset:4224
	ds_load_b128 v[64:67], v168 offset:4928
	s_wait_dscnt 0x1
	v_mul_f64_e32 v[68:69], v[42:43], v[58:59]
	v_mul_f64_e32 v[58:59], v[40:41], v[58:59]
	s_delay_alu instid0(VALU_DEP_2) | instskip(NEXT) | instid1(VALU_DEP_2)
	v_fma_f64 v[40:41], v[40:41], v[56:57], -v[68:69]
	v_fma_f64 v[42:43], v[42:43], v[56:57], v[58:59]
	ds_load_b128 v[56:59], v168 offset:11616
	ds_load_b128 v[68:71], v168 offset:12320
	s_wait_loadcnt_dscnt 0x1
	v_mul_f64_e32 v[72:73], v[58:59], v[62:63]
	v_mul_f64_e32 v[62:63], v[56:57], v[62:63]
	s_delay_alu instid0(VALU_DEP_2) | instskip(NEXT) | instid1(VALU_DEP_2)
	v_fma_f64 v[56:57], v[56:57], v[60:61], -v[72:73]
	v_fma_f64 v[58:59], v[58:59], v[60:61], v[62:63]
	s_clause 0x1
	global_load_b128 v[60:63], v168, s[2:3] offset:4928
	global_load_b128 v[72:75], v168, s[2:3] offset:5632
	s_wait_loadcnt 0x1
	v_mul_f64_e32 v[76:77], v[66:67], v[62:63]
	v_mul_f64_e32 v[78:79], v[64:65], v[62:63]
	s_delay_alu instid0(VALU_DEP_2) | instskip(NEXT) | instid1(VALU_DEP_2)
	v_fma_f64 v[62:63], v[64:65], v[60:61], -v[76:77]
	v_fma_f64 v[64:65], v[66:67], v[60:61], v[78:79]
	s_clause 0x1
	global_load_b128 v[76:79], v168, s[2:3] offset:12320
	global_load_b128 v[88:91], v168, s[2:3] offset:13024
	s_wait_loadcnt_dscnt 0x100
	v_mul_f64_e32 v[60:61], v[70:71], v[78:79]
	v_mul_f64_e32 v[78:79], v[68:69], v[78:79]
	s_delay_alu instid0(VALU_DEP_2) | instskip(NEXT) | instid1(VALU_DEP_2)
	v_fma_f64 v[66:67], v[68:69], v[76:77], -v[60:61]
	v_fma_f64 v[68:69], v[70:71], v[76:77], v[78:79]
	ds_load_b128 v[76:79], v168 offset:5632
	ds_load_b128 v[92:95], v168 offset:6336
	s_wait_dscnt 0x1
	v_mul_f64_e32 v[60:61], v[78:79], v[74:75]
	v_mul_f64_e32 v[74:75], v[76:77], v[74:75]
	s_delay_alu instid0(VALU_DEP_2) | instskip(NEXT) | instid1(VALU_DEP_2)
	v_fma_f64 v[70:71], v[76:77], v[72:73], -v[60:61]
	v_fma_f64 v[72:73], v[78:79], v[72:73], v[74:75]
	ds_load_b128 v[74:77], v168 offset:13024
	ds_load_b128 v[96:99], v168 offset:13728
	s_wait_loadcnt_dscnt 0x1
	v_mul_f64_e32 v[60:61], v[76:77], v[90:91]
	v_mul_f64_e32 v[78:79], v[74:75], v[90:91]
	s_delay_alu instid0(VALU_DEP_2) | instskip(SKIP_2) | instid1(VALU_DEP_4)
	v_fma_f64 v[74:75], v[74:75], v[88:89], -v[60:61]
	v_mul_f64_e32 v[60:61], v[94:95], v[10:11]
	v_mul_f64_e32 v[10:11], v[92:93], v[10:11]
	v_fma_f64 v[76:77], v[76:77], v[88:89], v[78:79]
	s_delay_alu instid0(VALU_DEP_3) | instskip(NEXT) | instid1(VALU_DEP_3)
	v_fma_f64 v[88:89], v[92:93], v[8:9], -v[60:61]
	v_fma_f64 v[90:91], v[94:95], v[8:9], v[10:11]
	global_load_b128 v[8:11], v168, s[2:3] offset:13728
	s_wait_loadcnt_dscnt 0x0
	v_mul_f64_e32 v[60:61], v[98:99], v[10:11]
	v_mul_f64_e32 v[10:11], v[96:97], v[10:11]
	s_delay_alu instid0(VALU_DEP_2) | instskip(NEXT) | instid1(VALU_DEP_2)
	v_fma_f64 v[92:93], v[96:97], v[8:9], -v[60:61]
	v_fma_f64 v[94:95], v[98:99], v[8:9], v[10:11]
	ds_store_b128 v168, v[32:35]
	ds_store_b128 v168, v[0:3] offset:704
	ds_store_b128 v168, v[44:47] offset:7392
	;; [unrolled: 1-line block ×19, first 2 shown]
	s_and_saveexec_b32 s1, vcc_lo
	s_cbranch_execz .LBB0_17
; %bb.16:
	s_wait_alu 0xfffe
	v_add_co_u32 v4, s2, s2, v168
	s_wait_alu 0xf1ff
	v_add_co_ci_u32_e64 v5, null, s3, 0, s2
	s_clause 0x1
	global_load_b128 v[0:3], v[4:5], off offset:7040
	global_load_b128 v[4:7], v[4:5], off offset:14432
	ds_load_b128 v[8:11], v168 offset:7040
	ds_load_b128 v[12:15], v168 offset:14432
	s_wait_loadcnt_dscnt 0x101
	v_mul_f64_e32 v[16:17], v[10:11], v[2:3]
	v_mul_f64_e32 v[2:3], v[8:9], v[2:3]
	s_wait_loadcnt_dscnt 0x0
	v_mul_f64_e32 v[18:19], v[14:15], v[6:7]
	v_mul_f64_e32 v[20:21], v[12:13], v[6:7]
	s_delay_alu instid0(VALU_DEP_4) | instskip(NEXT) | instid1(VALU_DEP_4)
	v_fma_f64 v[6:7], v[8:9], v[0:1], -v[16:17]
	v_fma_f64 v[8:9], v[10:11], v[0:1], v[2:3]
	s_delay_alu instid0(VALU_DEP_4) | instskip(NEXT) | instid1(VALU_DEP_4)
	v_fma_f64 v[0:1], v[12:13], v[4:5], -v[18:19]
	v_fma_f64 v[2:3], v[14:15], v[4:5], v[20:21]
	ds_store_b128 v168, v[6:9] offset:7040
	ds_store_b128 v168, v[0:3] offset:14432
.LBB0_17:
	s_wait_alu 0xfffe
	s_or_b32 exec_lo, exec_lo, s1
	global_wb scope:SCOPE_SE
	s_wait_dscnt 0x0
	s_barrier_signal -1
	s_barrier_wait -1
	global_inv scope:SCOPE_SE
	ds_load_b128 v[68:71], v168
	ds_load_b128 v[60:63], v168 offset:704
	ds_load_b128 v[72:75], v168 offset:7392
	;; [unrolled: 1-line block ×19, first 2 shown]
	s_and_saveexec_b32 s1, vcc_lo
	s_cbranch_execz .LBB0_19
; %bb.18:
	ds_load_b128 v[252:255], v168 offset:7040
	ds_load_b128 v[244:247], v168 offset:14432
.LBB0_19:
	s_wait_alu 0xfffe
	s_or_b32 exec_lo, exec_lo, s1
	global_wb scope:SCOPE_SE
	s_wait_dscnt 0x0
	s_barrier_signal -1
	s_barrier_wait -1
	global_inv scope:SCOPE_SE
	scratch_load_b32 v76, off, off offset:428 th:TH_LOAD_LU ; 4-byte Folded Reload
	v_add_f64_e64 v[72:73], v[68:69], -v[72:73]
	v_add_f64_e64 v[74:75], v[70:71], -v[74:75]
	;; [unrolled: 1-line block ×16, first 2 shown]
	v_fma_f64 v[68:69], v[68:69], 2.0, -v[72:73]
	v_fma_f64 v[70:71], v[70:71], 2.0, -v[74:75]
	;; [unrolled: 1-line block ×6, first 2 shown]
	s_wait_loadcnt 0x0
	ds_store_b128 v76, v[72:75] offset:16
	ds_store_b128 v76, v[68:71]
	scratch_load_b32 v68, off, off offset:432 th:TH_LOAD_LU ; 4-byte Folded Reload
	v_fma_f64 v[8:9], v[8:9], 2.0, -v[32:33]
	v_fma_f64 v[10:11], v[10:11], 2.0, -v[34:35]
	;; [unrolled: 1-line block ×8, first 2 shown]
	s_wait_loadcnt 0x0
	ds_store_b128 v68, v[60:63]
	ds_store_b128 v68, v[64:67] offset:16
	scratch_load_b32 v60, off, off offset:436 th:TH_LOAD_LU ; 4-byte Folded Reload
	v_fma_f64 v[62:63], v[2:3], 2.0, -v[50:51]
	s_wait_loadcnt 0x0
	ds_store_b128 v60, v[52:55]
	ds_store_b128 v60, v[56:59] offset:16
	scratch_load_b32 v64, off, off offset:412 th:TH_LOAD_LU ; 4-byte Folded Reload
	v_fma_f64 v[60:61], v[0:1], 2.0, -v[48:49]
	v_add_f64_e64 v[52:53], v[12:13], -v[4:5]
	v_add_f64_e64 v[54:55], v[14:15], -v[6:7]
	;; [unrolled: 1-line block ×6, first 2 shown]
	s_wait_loadcnt 0x0
	ds_store_b128 v64, v[60:63]
	ds_store_b128 v64, v[48:51] offset:16
	scratch_load_b32 v48, off, off offset:416 th:TH_LOAD_LU ; 4-byte Folded Reload
	v_fma_f64 v[12:13], v[12:13], 2.0, -v[52:53]
	v_fma_f64 v[14:15], v[14:15], 2.0, -v[54:55]
	;; [unrolled: 1-line block ×6, first 2 shown]
	s_wait_loadcnt 0x0
	ds_store_b128 v48, v[8:11]
	ds_store_b128 v48, v[32:35] offset:16
	scratch_load_b32 v8, off, off offset:420 th:TH_LOAD_LU ; 4-byte Folded Reload
	s_wait_loadcnt 0x0
	ds_store_b128 v8, v[12:15]
	ds_store_b128 v8, v[52:55] offset:16
	scratch_load_b32 v8, off, off offset:440 th:TH_LOAD_LU ; 4-byte Folded Reload
	;; [unrolled: 4-line block ×5, first 2 shown]
	s_wait_loadcnt 0x0
	ds_store_b128 v8, v[28:31]
	ds_store_b128 v8, v[40:43] offset:16
	s_and_saveexec_b32 s1, vcc_lo
	s_cbranch_execz .LBB0_21
; %bb.20:
	scratch_load_b32 v8, off, off offset:756 th:TH_LOAD_LU ; 4-byte Folded Reload
	s_wait_loadcnt 0x0
	ds_store_b128 v8, v[0:3]
	ds_store_b128 v8, v[4:7] offset:16
.LBB0_21:
	s_wait_alu 0xfffe
	s_or_b32 exec_lo, exec_lo, s1
	global_wb scope:SCOPE_SE
	s_wait_dscnt 0x0
	s_barrier_signal -1
	s_barrier_wait -1
	global_inv scope:SCOPE_SE
	ds_load_b128 v[32:35], v168
	ds_load_b128 v[28:31], v168 offset:704
	ds_load_b128 v[72:75], v168 offset:7392
	;; [unrolled: 1-line block ×19, first 2 shown]
	s_and_saveexec_b32 s1, vcc_lo
	s_cbranch_execz .LBB0_23
; %bb.22:
	ds_load_b128 v[0:3], v168 offset:7040
	ds_load_b128 v[4:7], v168 offset:14432
.LBB0_23:
	s_wait_alu 0xfffe
	s_or_b32 exec_lo, exec_lo, s1
	s_wait_dscnt 0x11
	v_mul_f64_e32 v[76:77], v[106:107], v[74:75]
	global_wb scope:SCOPE_SE
	s_wait_dscnt 0x0
	s_barrier_signal -1
	s_barrier_wait -1
	global_inv scope:SCOPE_SE
	v_fma_f64 v[76:77], v[104:105], v[72:73], v[76:77]
	v_mul_f64_e32 v[72:73], v[106:107], v[72:73]
	s_delay_alu instid0(VALU_DEP_1) | instskip(SKIP_1) | instid1(VALU_DEP_1)
	v_fma_f64 v[72:73], v[104:105], v[74:75], -v[72:73]
	v_mul_f64_e32 v[74:75], v[106:107], v[66:67]
	v_fma_f64 v[74:75], v[104:105], v[64:65], v[74:75]
	v_mul_f64_e32 v[64:65], v[106:107], v[64:65]
	s_delay_alu instid0(VALU_DEP_1) | instskip(SKIP_1) | instid1(VALU_DEP_1)
	v_fma_f64 v[64:65], v[104:105], v[66:67], -v[64:65]
	v_mul_f64_e32 v[66:67], v[106:107], v[70:71]
	;; [unrolled: 5-line block ×7, first 2 shown]
	v_fma_f64 v[54:55], v[104:105], v[40:41], v[54:55]
	v_mul_f64_e32 v[40:41], v[106:107], v[40:41]
	s_delay_alu instid0(VALU_DEP_1) | instskip(SKIP_3) | instid1(VALU_DEP_3)
	v_fma_f64 v[78:79], v[104:105], v[42:43], -v[40:41]
	v_mul_f64_e32 v[40:41], v[106:107], v[46:47]
	v_add_f64_e64 v[42:43], v[26:27], -v[48:49]
	v_add_f64_e64 v[48:49], v[16:17], -v[54:55]
	v_fma_f64 v[88:89], v[104:105], v[44:45], v[40:41]
	v_mul_f64_e32 v[40:41], v[106:107], v[44:45]
	s_delay_alu instid0(VALU_DEP_4)
	v_fma_f64 v[26:27], v[26:27], 2.0, -v[42:43]
	v_add_f64_e64 v[44:45], v[20:21], -v[50:51]
	v_add_f64_e64 v[50:51], v[18:19], -v[78:79]
	v_fma_f64 v[16:17], v[16:17], 2.0, -v[48:49]
	v_fma_f64 v[90:91], v[104:105], v[46:47], -v[40:41]
	v_mul_f64_e32 v[40:41], v[106:107], v[38:39]
	v_add_f64_e64 v[46:47], v[22:23], -v[52:53]
	v_fma_f64 v[20:21], v[20:21], 2.0, -v[44:45]
	v_fma_f64 v[18:19], v[18:19], 2.0, -v[50:51]
	v_add_f64_e64 v[52:53], v[12:13], -v[88:89]
	v_add_f64_e64 v[54:55], v[14:15], -v[90:91]
	v_fma_f64 v[92:93], v[104:105], v[36:37], v[40:41]
	v_mul_f64_e32 v[36:37], v[106:107], v[36:37]
	v_add_f64_e64 v[40:41], v[24:25], -v[62:63]
	v_fma_f64 v[22:23], v[22:23], 2.0, -v[46:47]
	v_fma_f64 v[12:13], v[12:13], 2.0, -v[52:53]
	v_fma_f64 v[14:15], v[14:15], 2.0, -v[54:55]
	v_fma_f64 v[94:95], v[104:105], v[38:39], -v[36:37]
	v_mul_f64_e32 v[36:37], v[106:107], v[6:7]
	v_fma_f64 v[24:25], v[24:25], 2.0, -v[40:41]
	s_delay_alu instid0(VALU_DEP_2) | instskip(SKIP_2) | instid1(VALU_DEP_1)
	v_fma_f64 v[96:97], v[104:105], v[4:5], v[36:37]
	scratch_load_b32 v36, off, off offset:488 th:TH_LOAD_LU ; 4-byte Folded Reload
	v_mul_f64_e32 v[4:5], v[106:107], v[4:5]
	v_fma_f64 v[98:99], v[104:105], v[6:7], -v[4:5]
	v_add_f64_e64 v[4:5], v[32:33], -v[76:77]
	v_add_f64_e64 v[6:7], v[34:35], -v[72:73]
	;; [unrolled: 1-line block ×3, first 2 shown]
	s_delay_alu instid0(VALU_DEP_4) | instskip(NEXT) | instid1(VALU_DEP_4)
	v_add_f64_e64 v[106:107], v[2:3], -v[98:99]
	v_fma_f64 v[32:33], v[32:33], 2.0, -v[4:5]
	s_delay_alu instid0(VALU_DEP_4)
	v_fma_f64 v[34:35], v[34:35], 2.0, -v[6:7]
	s_wait_loadcnt 0x0
	ds_store_b128 v36, v[4:7] offset:32
	ds_store_b128 v36, v[32:35]
	scratch_load_b32 v32, off, off offset:484 th:TH_LOAD_LU ; 4-byte Folded Reload
	v_add_f64_e64 v[4:5], v[28:29], -v[74:75]
	v_add_f64_e64 v[6:7], v[30:31], -v[64:65]
	v_add_f64_e64 v[34:35], v[246:247], -v[60:61]
	s_delay_alu instid0(VALU_DEP_3) | instskip(NEXT) | instid1(VALU_DEP_3)
	v_fma_f64 v[28:29], v[28:29], 2.0, -v[4:5]
	v_fma_f64 v[30:31], v[30:31], 2.0, -v[6:7]
	s_delay_alu instid0(VALU_DEP_3)
	v_fma_f64 v[38:39], v[246:247], 2.0, -v[34:35]
	s_wait_loadcnt 0x0
	ds_store_b128 v32, v[28:31]
	ds_store_b128 v32, v[4:7] offset:32
	scratch_load_b32 v32, off, off offset:480 th:TH_LOAD_LU ; 4-byte Folded Reload
	v_add_f64_e64 v[4:5], v[252:253], -v[66:67]
	v_add_f64_e64 v[6:7], v[254:255], -v[68:69]
	s_delay_alu instid0(VALU_DEP_2) | instskip(NEXT) | instid1(VALU_DEP_2)
	v_fma_f64 v[28:29], v[252:253], 2.0, -v[4:5]
	v_fma_f64 v[30:31], v[254:255], 2.0, -v[6:7]
	s_wait_loadcnt 0x0
	ds_store_b128 v32, v[28:31]
	ds_store_b128 v32, v[4:7] offset:32
	scratch_load_b32 v60, off, off offset:476 th:TH_LOAD_LU ; 4-byte Folded Reload
	v_add_f64_e64 v[4:5], v[248:249], -v[70:71]
	v_add_f64_e64 v[6:7], v[250:251], -v[56:57]
	;; [unrolled: 1-line block ×5, first 2 shown]
	v_fma_f64 v[28:29], v[248:249], 2.0, -v[4:5]
	v_fma_f64 v[30:31], v[250:251], 2.0, -v[6:7]
	;; [unrolled: 1-line block ×5, first 2 shown]
	s_wait_loadcnt 0x0
	ds_store_b128 v60, v[28:31]
	ds_store_b128 v60, v[4:7] offset:32
	scratch_load_b32 v4, off, off offset:472 th:TH_LOAD_LU ; 4-byte Folded Reload
	s_wait_loadcnt 0x0
	ds_store_b128 v4, v[36:39]
	ds_store_b128 v4, v[32:35] offset:32
	scratch_load_b32 v4, off, off offset:468 th:TH_LOAD_LU ; 4-byte Folded Reload
	s_wait_loadcnt 0x0
	ds_store_b128 v4, v[24:27]
	ds_store_b128 v4, v[40:43] offset:32
	scratch_load_b32 v4, off, off offset:464 th:TH_LOAD_LU ; 4-byte Folded Reload
	s_wait_loadcnt 0x0
	ds_store_b128 v4, v[20:23]
	ds_store_b128 v4, v[44:47] offset:32
	scratch_load_b32 v4, off, off offset:460 th:TH_LOAD_LU ; 4-byte Folded Reload
	s_wait_loadcnt 0x0
	ds_store_b128 v4, v[16:19]
	ds_store_b128 v4, v[48:51] offset:32
	scratch_load_b32 v4, off, off offset:456 th:TH_LOAD_LU ; 4-byte Folded Reload
	s_wait_loadcnt 0x0
	ds_store_b128 v4, v[12:15]
	ds_store_b128 v4, v[52:55] offset:32
	scratch_load_b32 v4, off, off offset:452 th:TH_LOAD_LU ; 4-byte Folded Reload
	s_wait_loadcnt 0x0
	ds_store_b128 v4, v[8:11]
	ds_store_b128 v4, v[56:59] offset:32
	s_and_saveexec_b32 s1, vcc_lo
	s_cbranch_execz .LBB0_25
; %bb.24:
	s_clause 0x1
	scratch_load_b32 v4, off, off offset:340 th:TH_LOAD_LU
	scratch_load_b32 v5, off, off offset:408 th:TH_LOAD_LU
	v_fma_f64 v[2:3], v[2:3], 2.0, -v[106:107]
	v_fma_f64 v[0:1], v[0:1], 2.0, -v[104:105]
	s_wait_loadcnt 0x0
	v_and_or_b32 v4, 0x3fc, v5, v4
	s_delay_alu instid0(VALU_DEP_1)
	v_lshlrev_b32_e32 v4, 4, v4
	ds_store_b128 v4, v[0:3]
	ds_store_b128 v4, v[104:107] offset:32
.LBB0_25:
	s_wait_alu 0xfffe
	s_or_b32 exec_lo, exec_lo, s1
	global_wb scope:SCOPE_SE
	s_wait_dscnt 0x0
	s_barrier_signal -1
	s_barrier_wait -1
	global_inv scope:SCOPE_SE
	ds_load_b128 v[0:3], v168 offset:4928
	ds_load_b128 v[4:7], v168 offset:4224
	s_mov_b32 s2, 0xe8584caa
	s_mov_b32 s3, 0xbfebb67a
	;; [unrolled: 1-line block ×3, first 2 shown]
	s_wait_alu 0xfffe
	s_mov_b32 s10, s2
	s_mov_b32 s18, 0xe976ee23
	;; [unrolled: 1-line block ×15, first 2 shown]
	s_wait_dscnt 0x1
	v_mul_f64_e32 v[8:9], v[86:87], v[2:3]
	s_wait_alu 0xfffe
	s_mov_b32 s26, s20
	s_mov_b32 s24, s16
	s_delay_alu instid0(VALU_DEP_1) | instskip(SKIP_1) | instid1(VALU_DEP_1)
	v_fma_f64 v[12:13], v[84:85], v[0:1], v[8:9]
	v_mul_f64_e32 v[0:1], v[86:87], v[0:1]
	v_fma_f64 v[14:15], v[84:85], v[2:3], -v[0:1]
	ds_load_b128 v[0:3], v168 offset:5632
	ds_load_b128 v[8:11], v168 offset:6336
	s_wait_dscnt 0x1
	v_mul_f64_e32 v[16:17], v[86:87], v[2:3]
	s_delay_alu instid0(VALU_DEP_1) | instskip(SKIP_1) | instid1(VALU_DEP_1)
	v_fma_f64 v[36:37], v[84:85], v[0:1], v[16:17]
	v_mul_f64_e32 v[0:1], v[86:87], v[0:1]
	v_fma_f64 v[38:39], v[84:85], v[2:3], -v[0:1]
	s_wait_dscnt 0x0
	v_mul_f64_e32 v[0:1], v[86:87], v[10:11]
	s_delay_alu instid0(VALU_DEP_1) | instskip(SKIP_1) | instid1(VALU_DEP_1)
	v_fma_f64 v[40:41], v[84:85], v[8:9], v[0:1]
	v_mul_f64_e32 v[0:1], v[86:87], v[8:9]
	v_fma_f64 v[42:43], v[84:85], v[10:11], -v[0:1]
	ds_load_b128 v[0:3], v168 offset:7040
	ds_load_b128 v[8:11], v168 offset:7744
	s_wait_dscnt 0x1
	v_mul_f64_e32 v[16:17], v[86:87], v[2:3]
	s_delay_alu instid0(VALU_DEP_1) | instskip(SKIP_1) | instid1(VALU_DEP_1)
	v_fma_f64 v[44:45], v[84:85], v[0:1], v[16:17]
	v_mul_f64_e32 v[0:1], v[86:87], v[0:1]
	v_fma_f64 v[46:47], v[84:85], v[2:3], -v[0:1]
	s_wait_dscnt 0x0
	v_mul_f64_e32 v[0:1], v[86:87], v[10:11]
	;; [unrolled: 14-line block ×4, first 2 shown]
	s_delay_alu instid0(VALU_DEP_2) | instskip(NEXT) | instid1(VALU_DEP_2)
	v_add_f64_e32 v[22:23], v[14:15], v[18:19]
	v_fma_f64 v[60:61], v[80:81], v[8:9], v[0:1]
	v_mul_f64_e32 v[0:1], v[82:83], v[8:9]
	s_delay_alu instid0(VALU_DEP_1) | instskip(SKIP_4) | instid1(VALU_DEP_1)
	v_fma_f64 v[62:63], v[80:81], v[10:11], -v[0:1]
	ds_load_b128 v[0:3], v168 offset:11264
	ds_load_b128 v[8:11], v168 offset:11968
	s_wait_dscnt 0x1
	v_mul_f64_e32 v[20:21], v[82:83], v[2:3]
	v_fma_f64 v[64:65], v[80:81], v[0:1], v[20:21]
	v_mul_f64_e32 v[0:1], v[82:83], v[0:1]
	s_delay_alu instid0(VALU_DEP_1) | instskip(SKIP_2) | instid1(VALU_DEP_1)
	v_fma_f64 v[66:67], v[80:81], v[2:3], -v[0:1]
	s_wait_dscnt 0x0
	v_mul_f64_e32 v[0:1], v[82:83], v[10:11]
	v_fma_f64 v[68:69], v[80:81], v[8:9], v[0:1]
	v_mul_f64_e32 v[0:1], v[82:83], v[8:9]
	s_delay_alu instid0(VALU_DEP_1) | instskip(SKIP_4) | instid1(VALU_DEP_1)
	v_fma_f64 v[70:71], v[80:81], v[10:11], -v[0:1]
	ds_load_b128 v[0:3], v168 offset:12672
	ds_load_b128 v[8:11], v168 offset:13376
	s_wait_dscnt 0x1
	v_mul_f64_e32 v[20:21], v[82:83], v[2:3]
	v_fma_f64 v[72:73], v[80:81], v[0:1], v[20:21]
	v_mul_f64_e32 v[0:1], v[82:83], v[0:1]
	v_add_f64_e32 v[20:21], v[12:13], v[16:17]
	s_delay_alu instid0(VALU_DEP_2) | instskip(SKIP_2) | instid1(VALU_DEP_1)
	v_fma_f64 v[74:75], v[80:81], v[2:3], -v[0:1]
	s_wait_dscnt 0x0
	v_mul_f64_e32 v[0:1], v[82:83], v[10:11]
	v_fma_f64 v[76:77], v[80:81], v[8:9], v[0:1]
	v_mul_f64_e32 v[0:1], v[82:83], v[8:9]
	s_delay_alu instid0(VALU_DEP_1) | instskip(SKIP_3) | instid1(VALU_DEP_1)
	v_fma_f64 v[78:79], v[80:81], v[10:11], -v[0:1]
	ds_load_b128 v[0:3], v168 offset:14080
	s_wait_dscnt 0x0
	v_mul_f64_e32 v[8:9], v[82:83], v[2:3]
	v_fma_f64 v[84:85], v[80:81], v[0:1], v[8:9]
	v_mul_f64_e32 v[0:1], v[82:83], v[0:1]
	s_delay_alu instid0(VALU_DEP_1)
	v_fma_f64 v[80:81], v[80:81], v[2:3], -v[0:1]
	ds_load_b128 v[0:3], v168
	ds_load_b128 v[8:11], v168 offset:704
	s_wait_dscnt 0x1
	v_fma_f64 v[22:23], v[22:23], -0.5, v[2:3]
	v_add_f64_e32 v[2:3], v[2:3], v[14:15]
	v_fma_f64 v[20:21], v[20:21], -0.5, v[0:1]
	v_add_f64_e32 v[0:1], v[0:1], v[12:13]
	v_add_f64_e64 v[14:15], v[14:15], -v[18:19]
	s_delay_alu instid0(VALU_DEP_4) | instskip(SKIP_1) | instid1(VALU_DEP_4)
	v_add_f64_e32 v[2:3], v[2:3], v[18:19]
	v_add_f64_e64 v[18:19], v[12:13], -v[16:17]
	v_add_f64_e32 v[0:1], v[0:1], v[16:17]
	s_delay_alu instid0(VALU_DEP_4) | instskip(SKIP_1) | instid1(VALU_DEP_4)
	v_fma_f64 v[12:13], v[14:15], s[2:3], v[20:21]
	v_fma_f64 v[16:17], v[14:15], s[10:11], v[20:21]
	;; [unrolled: 1-line block ×4, first 2 shown]
	ds_load_b128 v[20:23], v168 offset:1408
	ds_load_b128 v[24:27], v168 offset:2112
	;; [unrolled: 1-line block ×4, first 2 shown]
	global_wb scope:SCOPE_SE
	s_wait_dscnt 0x0
	s_barrier_signal -1
	s_barrier_wait -1
	global_inv scope:SCOPE_SE
	scratch_load_b32 v82, off, off offset:576 th:TH_LOAD_LU ; 4-byte Folded Reload
	s_wait_loadcnt 0x0
	ds_store_b128 v82, v[0:3]
	ds_store_b128 v82, v[12:15] offset:64
	ds_store_b128 v82, v[16:19] offset:128
	v_add_f64_e32 v[0:1], v[36:37], v[60:61]
	v_add_f64_e64 v[16:17], v[36:37], -v[60:61]
	s_delay_alu instid0(VALU_DEP_2) | instskip(SKIP_2) | instid1(VALU_DEP_2)
	v_fma_f64 v[12:13], v[0:1], -0.5, v[8:9]
	v_add_f64_e32 v[0:1], v[38:39], v[62:63]
	v_add_f64_e32 v[8:9], v[8:9], v[36:37]
	v_fma_f64 v[14:15], v[0:1], -0.5, v[10:11]
	v_add_f64_e32 v[0:1], v[10:11], v[38:39]
	v_add_f64_e64 v[10:11], v[38:39], -v[62:63]
	s_delay_alu instid0(VALU_DEP_2) | instskip(SKIP_1) | instid1(VALU_DEP_3)
	v_add_f64_e32 v[2:3], v[0:1], v[62:63]
	v_add_f64_e32 v[0:1], v[8:9], v[60:61]
	v_fma_f64 v[8:9], v[10:11], s[2:3], v[12:13]
	v_fma_f64 v[12:13], v[10:11], s[10:11], v[12:13]
	v_fma_f64 v[10:11], v[16:17], s[10:11], v[14:15]
	v_fma_f64 v[14:15], v[16:17], s[2:3], v[14:15]
	scratch_load_b32 v16, off, off offset:572 th:TH_LOAD_LU ; 4-byte Folded Reload
	s_wait_loadcnt 0x0
	ds_store_b128 v16, v[0:3]
	ds_store_b128 v16, v[8:11] offset:64
	ds_store_b128 v16, v[12:15] offset:128
	v_add_f64_e32 v[0:1], v[40:41], v[64:65]
	v_add_f64_e32 v[8:9], v[20:21], v[40:41]
	v_add_f64_e64 v[12:13], v[42:43], -v[66:67]
	v_add_f64_e64 v[16:17], v[40:41], -v[64:65]
	s_delay_alu instid0(VALU_DEP_4) | instskip(SKIP_1) | instid1(VALU_DEP_1)
	v_fma_f64 v[10:11], v[0:1], -0.5, v[20:21]
	v_add_f64_e32 v[0:1], v[42:43], v[66:67]
	v_fma_f64 v[14:15], v[0:1], -0.5, v[22:23]
	v_add_f64_e32 v[0:1], v[22:23], v[42:43]
	s_delay_alu instid0(VALU_DEP_1)
	v_add_f64_e32 v[2:3], v[0:1], v[66:67]
	v_add_f64_e32 v[0:1], v[8:9], v[64:65]
	v_fma_f64 v[8:9], v[12:13], s[2:3], v[10:11]
	v_fma_f64 v[12:13], v[12:13], s[10:11], v[10:11]
	v_fma_f64 v[10:11], v[16:17], s[10:11], v[14:15]
	v_fma_f64 v[14:15], v[16:17], s[2:3], v[14:15]
	scratch_load_b32 v16, off, off offset:568 th:TH_LOAD_LU ; 4-byte Folded Reload
	s_wait_loadcnt 0x0
	ds_store_b128 v16, v[0:3]
	ds_store_b128 v16, v[8:11] offset:64
	ds_store_b128 v16, v[12:15] offset:128
	v_add_f64_e32 v[0:1], v[44:45], v[68:69]
	v_add_f64_e32 v[8:9], v[24:25], v[44:45]
	v_add_f64_e64 v[12:13], v[46:47], -v[70:71]
	v_add_f64_e64 v[16:17], v[44:45], -v[68:69]
	s_delay_alu instid0(VALU_DEP_4) | instskip(SKIP_1) | instid1(VALU_DEP_1)
	v_fma_f64 v[10:11], v[0:1], -0.5, v[24:25]
	v_add_f64_e32 v[0:1], v[46:47], v[70:71]
	v_fma_f64 v[14:15], v[0:1], -0.5, v[26:27]
	v_add_f64_e32 v[0:1], v[26:27], v[46:47]
	s_delay_alu instid0(VALU_DEP_1)
	;; [unrolled: 21-line block ×4, first 2 shown]
	v_add_f64_e32 v[2:3], v[0:1], v[78:79]
	v_add_f64_e32 v[0:1], v[8:9], v[76:77]
	v_fma_f64 v[8:9], v[12:13], s[2:3], v[10:11]
	v_fma_f64 v[12:13], v[12:13], s[10:11], v[10:11]
	;; [unrolled: 1-line block ×4, first 2 shown]
	scratch_load_b32 v16, off, off offset:556 th:TH_LOAD_LU ; 4-byte Folded Reload
	s_wait_loadcnt 0x0
	ds_store_b128 v16, v[0:3]
	ds_store_b128 v16, v[8:11] offset:64
	ds_store_b128 v16, v[12:15] offset:128
	v_add_f64_e32 v[0:1], v[56:57], v[84:85]
	v_add_f64_e64 v[12:13], v[56:57], -v[84:85]
	s_delay_alu instid0(VALU_DEP_2) | instskip(SKIP_2) | instid1(VALU_DEP_2)
	v_fma_f64 v[8:9], v[0:1], -0.5, v[4:5]
	v_add_f64_e32 v[0:1], v[58:59], v[80:81]
	v_add_f64_e32 v[4:5], v[4:5], v[56:57]
	v_fma_f64 v[10:11], v[0:1], -0.5, v[6:7]
	v_add_f64_e32 v[0:1], v[6:7], v[58:59]
	v_add_f64_e64 v[6:7], v[58:59], -v[80:81]
	s_delay_alu instid0(VALU_DEP_2) | instskip(SKIP_1) | instid1(VALU_DEP_3)
	v_add_f64_e32 v[2:3], v[0:1], v[80:81]
	v_add_f64_e32 v[0:1], v[4:5], v[84:85]
	v_fma_f64 v[4:5], v[6:7], s[2:3], v[8:9]
	v_fma_f64 v[8:9], v[6:7], s[10:11], v[8:9]
	;; [unrolled: 1-line block ×4, first 2 shown]
	scratch_load_b32 v12, off, off offset:552 th:TH_LOAD_LU ; 4-byte Folded Reload
	s_mov_b32 s2, 0x36b3c0b5
	s_mov_b32 s3, 0x3fac98ee
	s_mov_b32 s10, 0x37c3f68c
	s_mov_b32 s11, 0xbfdc38aa
	s_wait_loadcnt 0x0
	ds_store_b128 v12, v[0:3]
	ds_store_b128 v12, v[4:7] offset:64
	ds_store_b128 v12, v[8:11] offset:128
	global_wb scope:SCOPE_SE
	s_wait_dscnt 0x0
	s_barrier_signal -1
	s_barrier_wait -1
	global_inv scope:SCOPE_SE
	ds_load_b128 v[0:3], v168 offset:2112
	ds_load_b128 v[4:7], v168 offset:1408
	scratch_load_b128 v[10:13], off, off offset:344 th:TH_LOAD_LU ; 16-byte Folded Reload
	s_wait_loadcnt_dscnt 0x1
	v_mul_f64_e32 v[8:9], v[12:13], v[2:3]
	s_delay_alu instid0(VALU_DEP_1) | instskip(SKIP_1) | instid1(VALU_DEP_1)
	v_fma_f64 v[24:25], v[10:11], v[0:1], v[8:9]
	v_mul_f64_e32 v[0:1], v[12:13], v[0:1]
	v_fma_f64 v[26:27], v[10:11], v[2:3], -v[0:1]
	ds_load_b128 v[0:3], v168 offset:4224
	ds_load_b128 v[8:11], v168 offset:4928
	scratch_load_b128 v[14:17], off, off offset:360 th:TH_LOAD_LU ; 16-byte Folded Reload
	s_wait_loadcnt_dscnt 0x1
	v_mul_f64_e32 v[12:13], v[16:17], v[2:3]
	s_delay_alu instid0(VALU_DEP_1) | instskip(SKIP_1) | instid1(VALU_DEP_1)
	v_fma_f64 v[28:29], v[14:15], v[0:1], v[12:13]
	v_mul_f64_e32 v[0:1], v[16:17], v[0:1]
	v_fma_f64 v[30:31], v[14:15], v[2:3], -v[0:1]
	;; [unrolled: 9-line block ×4, first 2 shown]
	ds_load_b128 v[0:3], v168 offset:2816
	ds_load_b128 v[20:23], v168 offset:3520
	s_clause 0x1
	scratch_load_b128 v[42:45], off, off offset:580 th:TH_LOAD_LU
	scratch_load_b128 v[46:49], off, off offset:508 th:TH_LOAD_LU
	v_add_f64_e32 v[86:87], v[30:31], v[38:39]
	s_wait_loadcnt_dscnt 0x101
	v_mul_f64_e32 v[40:41], v[44:45], v[2:3]
	s_delay_alu instid0(VALU_DEP_1) | instskip(SKIP_1) | instid1(VALU_DEP_1)
	v_fma_f64 v[40:41], v[42:43], v[0:1], v[40:41]
	v_mul_f64_e32 v[0:1], v[44:45], v[0:1]
	v_fma_f64 v[42:43], v[42:43], v[2:3], -v[0:1]
	s_wait_loadcnt 0x0
	v_mul_f64_e32 v[0:1], v[48:49], v[10:11]
	s_delay_alu instid0(VALU_DEP_1) | instskip(SKIP_1) | instid1(VALU_DEP_1)
	v_fma_f64 v[44:45], v[46:47], v[8:9], v[0:1]
	v_mul_f64_e32 v[0:1], v[48:49], v[8:9]
	v_fma_f64 v[46:47], v[46:47], v[10:11], -v[0:1]
	scratch_load_b128 v[8:11], off, off offset:596 th:TH_LOAD_LU ; 16-byte Folded Reload
	s_wait_loadcnt 0x0
	v_mul_f64_e32 v[0:1], v[10:11], v[14:15]
	s_delay_alu instid0(VALU_DEP_1) | instskip(SKIP_1) | instid1(VALU_DEP_2)
	v_fma_f64 v[48:49], v[8:9], v[12:13], v[0:1]
	v_mul_f64_e32 v[0:1], v[10:11], v[12:13]
	v_add_f64_e32 v[100:101], v[40:41], v[48:49]
	s_delay_alu instid0(VALU_DEP_2)
	v_fma_f64 v[50:51], v[8:9], v[14:15], -v[0:1]
	ds_load_b128 v[0:3], v168 offset:11264
	ds_load_b128 v[8:11], v168 offset:11968
	scratch_load_b128 v[54:57], off, off offset:524 th:TH_LOAD_LU ; 16-byte Folded Reload
	v_add_f64_e32 v[116:117], v[42:43], v[50:51]
	v_add_f64_e64 v[42:43], v[42:43], -v[50:51]
	s_wait_loadcnt_dscnt 0x1
	v_mul_f64_e32 v[12:13], v[56:57], v[2:3]
	s_delay_alu instid0(VALU_DEP_1) | instskip(SKIP_1) | instid1(VALU_DEP_2)
	v_fma_f64 v[52:53], v[54:55], v[0:1], v[12:13]
	v_mul_f64_e32 v[0:1], v[56:57], v[0:1]
	v_add_f64_e32 v[102:103], v[44:45], v[52:53]
	s_delay_alu instid0(VALU_DEP_2)
	v_fma_f64 v[54:55], v[54:55], v[2:3], -v[0:1]
	ds_load_b128 v[0:3], v168 offset:6336
	ds_load_b128 v[12:15], v168 offset:5632
	scratch_load_b128 v[58:61], off, off offset:612 th:TH_LOAD_LU ; 16-byte Folded Reload
	v_add_f64_e32 v[110:111], v[102:103], v[100:101]
	v_add_f64_e32 v[118:119], v[46:47], v[54:55]
	s_delay_alu instid0(VALU_DEP_1) | instskip(SKIP_2) | instid1(VALU_DEP_1)
	v_add_f64_e32 v[112:113], v[118:119], v[116:117]
	s_wait_loadcnt_dscnt 0x1
	v_mul_f64_e32 v[56:57], v[60:61], v[2:3]
	v_fma_f64 v[56:57], v[58:59], v[0:1], v[56:57]
	v_mul_f64_e32 v[0:1], v[60:61], v[0:1]
	s_delay_alu instid0(VALU_DEP_1) | instskip(SKIP_1) | instid1(VALU_DEP_1)
	v_fma_f64 v[58:59], v[58:59], v[2:3], -v[0:1]
	v_mul_f64_e32 v[0:1], v[198:199], v[22:23]
	v_fma_f64 v[60:61], v[196:197], v[20:21], v[0:1]
	v_mul_f64_e32 v[0:1], v[198:199], v[20:21]
	s_delay_alu instid0(VALU_DEP_1) | instskip(SKIP_3) | instid1(VALU_DEP_1)
	v_fma_f64 v[62:63], v[196:197], v[22:23], -v[0:1]
	scratch_load_b128 v[20:23], off, off offset:676 th:TH_LOAD_LU ; 16-byte Folded Reload
	s_wait_loadcnt_dscnt 0x0
	v_mul_f64_e32 v[0:1], v[22:23], v[14:15]
	v_fma_f64 v[64:65], v[20:21], v[12:13], v[0:1]
	v_mul_f64_e32 v[0:1], v[22:23], v[12:13]
	s_delay_alu instid0(VALU_DEP_1) | instskip(SKIP_3) | instid1(VALU_DEP_1)
	v_fma_f64 v[66:67], v[20:21], v[14:15], -v[0:1]
	ds_load_b128 v[0:3], v168 offset:14080
	s_wait_dscnt 0x0
	v_mul_f64_e32 v[12:13], v[202:203], v[2:3]
	v_fma_f64 v[68:69], v[200:201], v[0:1], v[12:13]
	v_mul_f64_e32 v[0:1], v[202:203], v[0:1]
	s_delay_alu instid0(VALU_DEP_2) | instskip(NEXT) | instid1(VALU_DEP_2)
	v_add_f64_e32 v[124:125], v[60:61], v[68:69]
	v_fma_f64 v[70:71], v[200:201], v[2:3], -v[0:1]
	v_mul_f64_e32 v[0:1], v[190:191], v[10:11]
	s_delay_alu instid0(VALU_DEP_2) | instskip(NEXT) | instid1(VALU_DEP_2)
	v_add_f64_e32 v[132:133], v[62:63], v[70:71]
	v_fma_f64 v[72:73], v[188:189], v[8:9], v[0:1]
	v_mul_f64_e32 v[0:1], v[190:191], v[8:9]
	s_delay_alu instid0(VALU_DEP_2) | instskip(NEXT) | instid1(VALU_DEP_2)
	v_add_f64_e32 v[126:127], v[64:65], v[72:73]
	v_fma_f64 v[74:75], v[188:189], v[10:11], -v[0:1]
	ds_load_b128 v[0:3], v168 offset:8448
	ds_load_b128 v[8:11], v168 offset:9152
	scratch_load_b128 v[76:79], off, off offset:492 th:TH_LOAD_LU ; 16-byte Folded Reload
	v_add_f64_e32 v[134:135], v[66:67], v[74:75]
	s_wait_loadcnt_dscnt 0x1
	v_mul_f64_e32 v[12:13], v[78:79], v[2:3]
	s_delay_alu instid0(VALU_DEP_1) | instskip(SKIP_1) | instid1(VALU_DEP_1)
	v_fma_f64 v[20:21], v[76:77], v[0:1], v[12:13]
	v_mul_f64_e32 v[0:1], v[78:79], v[0:1]
	v_fma_f64 v[22:23], v[76:77], v[2:3], -v[0:1]
	ds_load_b128 v[0:3], v168 offset:7040
	ds_load_b128 v[12:15], v168 offset:7744
	s_clause 0x1
	scratch_load_b128 v[78:81], off, off offset:644 th:TH_LOAD_LU
	scratch_load_b128 v[82:85], off, off offset:628 th:TH_LOAD_LU
	v_add_f64_e32 v[96:97], v[58:59], v[22:23]
	v_add_f64_e64 v[22:23], v[22:23], -v[58:59]
	s_wait_loadcnt_dscnt 0x101
	v_mul_f64_e32 v[76:77], v[80:81], v[2:3]
	s_delay_alu instid0(VALU_DEP_1) | instskip(SKIP_1) | instid1(VALU_DEP_1)
	v_fma_f64 v[76:77], v[78:79], v[0:1], v[76:77]
	v_mul_f64_e32 v[0:1], v[80:81], v[0:1]
	v_fma_f64 v[78:79], v[78:79], v[2:3], -v[0:1]
	s_wait_loadcnt 0x0
	v_mul_f64_e32 v[0:1], v[84:85], v[10:11]
	s_delay_alu instid0(VALU_DEP_1)
	v_fma_f64 v[80:81], v[82:83], v[8:9], v[0:1]
	v_mul_f64_e32 v[0:1], v[84:85], v[8:9]
	v_add_f64_e32 v[84:85], v[26:27], v[34:35]
	v_add_f64_e64 v[26:27], v[26:27], -v[34:35]
	v_add_f64_e64 v[34:35], v[96:97], -v[86:87]
	v_add_f64_e32 v[108:109], v[76:77], v[80:81]
	v_fma_f64 v[82:83], v[82:83], v[10:11], -v[0:1]
	scratch_load_b128 v[8:11], off, off offset:660 th:TH_LOAD_LU ; 16-byte Folded Reload
	s_wait_dscnt 0x0
	v_mul_f64_e32 v[0:1], v[194:195], v[14:15]
	v_add_f64_e32 v[110:111], v[108:109], v[110:111]
	v_add_f64_e32 v[120:121], v[78:79], v[82:83]
	s_delay_alu instid0(VALU_DEP_3) | instskip(SKIP_2) | instid1(VALU_DEP_4)
	v_fma_f64 v[88:89], v[192:193], v[12:13], v[0:1]
	v_mul_f64_e32 v[0:1], v[194:195], v[12:13]
	v_add_f64_e32 v[12:13], v[28:29], v[36:37]
	v_add_f64_e32 v[122:123], v[120:121], v[112:113]
	v_add_f64_e32 v[112:113], v[126:127], v[124:125]
	v_add_f64_e64 v[50:51], v[120:121], -v[118:119]
	v_fma_f64 v[90:91], v[192:193], v[14:15], -v[0:1]
	s_wait_loadcnt 0x0
	v_mul_f64_e32 v[0:1], v[10:11], v[18:19]
	s_delay_alu instid0(VALU_DEP_1)
	v_fma_f64 v[92:93], v[8:9], v[16:17], v[0:1]
	v_mul_f64_e32 v[0:1], v[10:11], v[16:17]
	v_add_f64_e32 v[16:17], v[24:25], v[32:33]
	v_add_f64_e64 v[24:25], v[24:25], -v[32:33]
	v_add_f64_e64 v[32:33], v[86:87], -v[84:85]
	v_add_f64_e32 v[128:129], v[88:89], v[92:93]
	v_fma_f64 v[94:95], v[8:9], v[18:19], -v[0:1]
	v_add_f64_e32 v[18:19], v[56:57], v[20:21]
	v_add_f64_e32 v[0:1], v[12:13], v[16:17]
	v_add_f64_e64 v[20:21], v[20:21], -v[56:57]
	v_add_f64_e32 v[130:131], v[128:129], v[112:113]
	v_add_f64_e32 v[136:137], v[90:91], v[94:95]
	;; [unrolled: 1-line block ×5, first 2 shown]
	s_delay_alu instid0(VALU_DEP_3) | instskip(SKIP_2) | instid1(VALU_DEP_4)
	v_add_f64_e32 v[138:139], v[136:137], v[112:113]
	v_add_f64_e32 v[112:113], v[4:5], v[130:131]
	v_add_f64_e64 v[4:5], v[28:29], -v[36:37]
	v_add_f64_e32 v[98:99], v[96:97], v[0:1]
	ds_load_b128 v[0:3], v168
	ds_load_b128 v[8:11], v168 offset:704
	v_add_f64_e64 v[28:29], v[12:13], -v[16:17]
	v_add_f64_e64 v[16:17], v[16:17], -v[18:19]
	global_wb scope:SCOPE_SE
	s_wait_dscnt 0x0
	s_barrier_signal -1
	s_barrier_wait -1
	global_inv scope:SCOPE_SE
	v_add_f64_e32 v[0:1], v[0:1], v[14:15]
	v_add_f64_e32 v[8:9], v[8:9], v[110:111]
	;; [unrolled: 1-line block ×4, first 2 shown]
	v_add_f64_e64 v[6:7], v[30:31], -v[38:39]
	v_add_f64_e64 v[36:37], v[20:21], -v[4:5]
	;; [unrolled: 1-line block ×3, first 2 shown]
	v_add_f64_e32 v[12:13], v[20:21], v[4:5]
	v_add_f64_e64 v[38:39], v[4:5], -v[24:25]
	v_add_f64_e64 v[18:19], v[84:85], -v[96:97]
	v_add_f64_e32 v[2:3], v[2:3], v[98:99]
	v_fma_f64 v[142:143], v[14:15], s[14:15], v[0:1]
	v_fma_f64 v[84:85], v[110:111], s[14:15], v[8:9]
	v_add_f64_e64 v[4:5], v[22:23], -v[6:7]
	v_add_f64_e32 v[56:57], v[22:23], v[6:7]
	v_add_f64_e64 v[58:59], v[6:7], -v[26:27]
	v_mul_f64_e32 v[36:37], s[18:19], v[36:37]
	v_add_f64_e32 v[140:141], v[12:13], v[24:25]
	v_add_f64_e64 v[24:25], v[24:25], -v[20:21]
	s_wait_alu 0xfffe
	v_mul_f64_e32 v[6:7], s[2:3], v[34:35]
	v_fma_f64 v[98:99], v[98:99], s[14:15], v[2:3]
	v_mul_f64_e32 v[86:87], s[18:19], v[4:5]
	v_add_f64_e32 v[56:57], v[56:57], v[26:27]
	v_add_f64_e64 v[26:27], v[26:27], -v[22:23]
	v_fma_f64 v[14:15], v[38:39], s[12:13], -v[36:37]
	v_mul_f64_e32 v[20:21], s[12:13], v[58:59]
	v_mul_f64_e32 v[22:23], s[12:13], v[38:39]
	;; [unrolled: 1-line block ×4, first 2 shown]
	v_fma_f64 v[6:7], v[32:33], s[16:17], -v[6:7]
	v_fma_f64 v[12:13], v[58:59], s[12:13], -v[86:87]
	v_mul_f64_e32 v[58:59], s[22:23], v[18:19]
	v_fma_f64 v[14:15], v[140:141], s[10:11], v[14:15]
	v_fma_f64 v[16:17], v[26:27], s[26:27], -v[20:21]
	v_fma_f64 v[18:19], v[24:25], s[26:27], -v[22:23]
	;; [unrolled: 1-line block ×4, first 2 shown]
	v_fma_f64 v[26:27], v[26:27], s[20:21], v[86:87]
	v_fma_f64 v[24:25], v[24:25], s[20:21], v[36:37]
	v_add_f64_e64 v[36:37], v[80:81], -v[76:77]
	v_fma_f64 v[86:87], v[122:123], s[14:15], v[10:11]
	v_add_f64_e32 v[146:147], v[6:7], v[98:99]
	v_fma_f64 v[12:13], v[56:57], s[10:11], v[12:13]
	v_fma_f64 v[22:23], v[32:33], s[24:25], -v[58:59]
	v_fma_f64 v[28:29], v[56:57], s[10:11], v[16:17]
	v_fma_f64 v[32:33], v[140:141], s[10:11], v[18:19]
	v_add_f64_e32 v[20:21], v[20:21], v[142:143]
	v_add_f64_e32 v[144:145], v[4:5], v[142:143]
	;; [unrolled: 1-line block ×3, first 2 shown]
	v_add_f64_e64 v[14:15], v[146:147], -v[14:15]
	v_add_f64_e32 v[22:23], v[22:23], v[98:99]
	v_add_f64_e32 v[16:17], v[28:29], v[20:21]
	v_add_f64_e64 v[20:21], v[20:21], -v[28:29]
	v_fma_f64 v[28:29], v[30:31], s[2:3], v[38:39]
	v_fma_f64 v[30:31], v[34:35], s[2:3], v[58:59]
	;; [unrolled: 1-line block ×3, first 2 shown]
	v_add_f64_e64 v[38:39], v[40:41], -v[48:49]
	v_add_f64_e64 v[40:41], v[82:83], -v[78:79]
	;; [unrolled: 1-line block ×4, first 2 shown]
	v_add_f64_e32 v[12:13], v[12:13], v[144:145]
	v_add_f64_e64 v[18:19], v[22:23], -v[32:33]
	v_add_f64_e32 v[22:23], v[32:33], v[22:23]
	v_fma_f64 v[32:33], v[56:57], s[10:11], v[26:27]
	v_add_f64_e32 v[28:29], v[28:29], v[142:143]
	v_add_f64_e32 v[30:31], v[30:31], v[98:99]
	s_delay_alu instid0(VALU_DEP_2) | instskip(NEXT) | instid1(VALU_DEP_2)
	v_add_f64_e32 v[24:25], v[32:33], v[28:29]
	v_add_f64_e64 v[26:27], v[30:31], -v[34:35]
	v_add_f64_e64 v[28:29], v[28:29], -v[32:33]
	v_add_f64_e32 v[30:31], v[34:35], v[30:31]
	v_add_f64_e64 v[32:33], v[44:45], -v[52:53]
	v_add_f64_e64 v[34:35], v[46:47], -v[54:55]
	;; [unrolled: 1-line block ×4, first 2 shown]
	s_delay_alu instid0(VALU_DEP_4)
	v_add_f64_e32 v[52:53], v[36:37], v[32:33]
	v_add_f64_e64 v[54:55], v[36:37], -v[32:33]
	v_add_f64_e64 v[56:57], v[32:33], -v[38:39]
	v_add_f64_e32 v[32:33], v[40:41], v[34:35]
	v_add_f64_e64 v[58:59], v[40:41], -v[34:35]
	v_add_f64_e64 v[76:77], v[34:35], -v[42:43]
	v_mul_f64_e32 v[34:35], s[2:3], v[50:51]
	v_add_f64_e64 v[40:41], v[42:43], -v[40:41]
	v_add_f64_e32 v[52:53], v[52:53], v[38:39]
	v_mul_f64_e32 v[54:55], s[18:19], v[54:55]
	v_add_f64_e32 v[78:79], v[32:33], v[42:43]
	v_mul_f64_e32 v[58:59], s[18:19], v[58:59]
	v_mul_f64_e32 v[32:33], s[2:3], v[46:47]
	v_fma_f64 v[34:35], v[48:49], s[16:17], -v[34:35]
	v_fma_f64 v[82:83], v[56:57], s[12:13], -v[54:55]
	s_delay_alu instid0(VALU_DEP_4) | instskip(NEXT) | instid1(VALU_DEP_4)
	v_fma_f64 v[80:81], v[76:77], s[12:13], -v[58:59]
	v_fma_f64 v[32:33], v[44:45], s[16:17], -v[32:33]
	s_delay_alu instid0(VALU_DEP_4) | instskip(NEXT) | instid1(VALU_DEP_4)
	v_add_f64_e32 v[98:99], v[34:35], v[86:87]
	v_fma_f64 v[82:83], v[52:53], s[10:11], v[82:83]
	s_delay_alu instid0(VALU_DEP_4) | instskip(NEXT) | instid1(VALU_DEP_4)
	v_fma_f64 v[80:81], v[78:79], s[10:11], v[80:81]
	v_add_f64_e32 v[96:97], v[32:33], v[84:85]
	s_delay_alu instid0(VALU_DEP_3) | instskip(SKIP_2) | instid1(VALU_DEP_4)
	v_add_f64_e32 v[34:35], v[82:83], v[98:99]
	v_add_f64_e64 v[82:83], v[98:99], -v[82:83]
	v_add_f64_e64 v[98:99], v[116:117], -v[120:121]
	;; [unrolled: 1-line block ×3, first 2 shown]
	v_add_f64_e32 v[80:81], v[80:81], v[96:97]
	v_add_f64_e64 v[96:97], v[100:101], -v[108:109]
	v_add_f64_e64 v[100:101], v[38:39], -v[36:37]
	v_mul_f64_e32 v[36:37], s[12:13], v[76:77]
	v_mul_f64_e32 v[38:39], s[12:13], v[56:57]
	;; [unrolled: 1-line block ×4, first 2 shown]
	s_delay_alu instid0(VALU_DEP_4) | instskip(NEXT) | instid1(VALU_DEP_4)
	v_fma_f64 v[36:37], v[40:41], s[26:27], -v[36:37]
	v_fma_f64 v[38:39], v[100:101], s[26:27], -v[38:39]
	v_fma_f64 v[40:41], v[40:41], s[20:21], v[58:59]
	v_add_f64_e64 v[58:59], v[128:129], -v[126:127]
	v_fma_f64 v[48:49], v[48:49], s[24:25], -v[56:57]
	v_fma_f64 v[44:45], v[44:45], s[24:25], -v[42:43]
	v_fma_f64 v[42:43], v[46:47], s[2:3], v[42:43]
	v_fma_f64 v[76:77], v[78:79], s[10:11], v[36:37]
	;; [unrolled: 1-line block ×4, first 2 shown]
	v_add_f64_e64 v[56:57], v[126:127], -v[124:125]
	v_add_f64_e32 v[48:49], v[48:49], v[86:87]
	v_add_f64_e32 v[44:45], v[44:45], v[84:85]
	;; [unrolled: 1-line block ×4, first 2 shown]
	s_delay_alu instid0(VALU_DEP_4)
	v_add_f64_e64 v[38:39], v[48:49], -v[96:97]
	v_add_f64_e32 v[118:119], v[96:97], v[48:49]
	v_fma_f64 v[48:49], v[78:79], s[10:11], v[40:41]
	v_fma_f64 v[78:79], v[138:139], s[14:15], v[114:115]
	v_add_f64_e32 v[36:37], v[76:77], v[44:45]
	v_add_f64_e64 v[116:117], v[44:45], -v[76:77]
	v_fma_f64 v[44:45], v[100:101], s[20:21], v[54:55]
	v_add_f64_e64 v[54:55], v[62:63], -v[70:71]
	v_add_f64_e64 v[62:63], v[136:137], -v[134:135]
	v_fma_f64 v[76:77], v[130:131], s[14:15], v[112:113]
	v_add_f64_e32 v[40:41], v[48:49], v[50:51]
	v_add_f64_e64 v[84:85], v[50:51], -v[48:49]
	v_add_f64_e64 v[50:51], v[66:67], -v[74:75]
	;; [unrolled: 1-line block ×3, first 2 shown]
	v_fma_f64 v[44:45], v[52:53], s[10:11], v[44:45]
	v_add_f64_e64 v[52:53], v[94:95], -v[90:91]
	v_add_f64_e64 v[60:61], v[134:135], -v[132:133]
	v_mul_f64_e32 v[74:75], s[2:3], v[62:63]
	s_delay_alu instid0(VALU_DEP_4)
	v_add_f64_e64 v[42:43], v[46:47], -v[44:45]
	v_add_f64_e32 v[86:87], v[44:45], v[46:47]
	v_add_f64_e64 v[44:45], v[64:65], -v[72:73]
	v_add_f64_e64 v[46:47], v[92:93], -v[88:89]
	;; [unrolled: 1-line block ×3, first 2 shown]
	v_add_f64_e32 v[68:69], v[52:53], v[50:51]
	v_add_f64_e64 v[50:51], v[50:51], -v[54:55]
	v_mul_f64_e32 v[72:73], s[2:3], v[58:59]
	v_fma_f64 v[74:75], v[60:61], s[16:17], -v[74:75]
	v_add_f64_e64 v[66:67], v[46:47], -v[44:45]
	v_add_f64_e32 v[64:65], v[46:47], v[44:45]
	v_add_f64_e64 v[44:45], v[44:45], -v[48:49]
	v_mul_f64_e32 v[70:71], s[18:19], v[70:71]
	v_add_f64_e32 v[68:69], v[68:69], v[54:55]
	v_fma_f64 v[72:73], v[56:57], s[16:17], -v[72:73]
	v_add_f64_e32 v[74:75], v[74:75], v[78:79]
	v_add_f64_e64 v[46:47], v[48:49], -v[46:47]
	v_mul_f64_e32 v[66:67], s[18:19], v[66:67]
	v_add_f64_e32 v[64:65], v[64:65], v[48:49]
	v_add_f64_e64 v[48:49], v[54:55], -v[52:53]
	v_fma_f64 v[90:91], v[50:51], s[12:13], -v[70:71]
	v_mul_f64_e32 v[50:51], s[12:13], v[50:51]
	v_add_f64_e32 v[72:73], v[72:73], v[76:77]
	v_fma_f64 v[88:89], v[44:45], s[12:13], -v[66:67]
	v_mul_f64_e32 v[44:45], s[12:13], v[44:45]
	v_fma_f64 v[90:91], v[68:69], s[10:11], v[90:91]
	v_fma_f64 v[50:51], v[48:49], s[26:27], -v[50:51]
	s_delay_alu instid0(VALU_DEP_4) | instskip(NEXT) | instid1(VALU_DEP_4)
	v_fma_f64 v[88:89], v[64:65], s[10:11], v[88:89]
	v_fma_f64 v[44:45], v[46:47], s[26:27], -v[44:45]
	s_delay_alu instid0(VALU_DEP_4)
	v_add_f64_e64 v[148:149], v[72:73], -v[90:91]
	v_add_f64_e32 v[152:153], v[90:91], v[72:73]
	v_add_f64_e64 v[72:73], v[124:125], -v[128:129]
	v_fma_f64 v[50:51], v[68:69], s[10:11], v[50:51]
	v_add_f64_e32 v[150:151], v[88:89], v[74:75]
	v_add_f64_e64 v[154:155], v[74:75], -v[88:89]
	v_add_f64_e64 v[74:75], v[132:133], -v[136:137]
	v_fma_f64 v[44:45], v[64:65], s[10:11], v[44:45]
	v_mul_f64_e32 v[52:53], s[22:23], v[72:73]
	s_delay_alu instid0(VALU_DEP_3) | instskip(NEXT) | instid1(VALU_DEP_2)
	v_mul_f64_e32 v[54:55], s[22:23], v[74:75]
	v_fma_f64 v[56:57], v[56:57], s[24:25], -v[52:53]
	s_delay_alu instid0(VALU_DEP_2) | instskip(NEXT) | instid1(VALU_DEP_2)
	v_fma_f64 v[60:61], v[60:61], s[24:25], -v[54:55]
	v_add_f64_e32 v[56:57], v[56:57], v[76:77]
	s_delay_alu instid0(VALU_DEP_2) | instskip(NEXT) | instid1(VALU_DEP_2)
	v_add_f64_e32 v[60:61], v[60:61], v[78:79]
	v_add_f64_e32 v[160:161], v[50:51], v[56:57]
	v_add_f64_e64 v[108:109], v[56:57], -v[50:51]
	v_fma_f64 v[50:51], v[62:63], s[2:3], v[54:55]
	s_delay_alu instid0(VALU_DEP_4)
	v_add_f64_e64 v[162:163], v[60:61], -v[44:45]
	v_add_f64_e32 v[110:111], v[44:45], v[60:61]
	v_fma_f64 v[44:45], v[46:47], s[20:21], v[66:67]
	v_fma_f64 v[46:47], v[48:49], s[20:21], v[70:71]
	;; [unrolled: 1-line block ×3, first 2 shown]
	v_add_f64_e32 v[50:51], v[50:51], v[78:79]
	s_delay_alu instid0(VALU_DEP_4) | instskip(NEXT) | instid1(VALU_DEP_4)
	v_fma_f64 v[44:45], v[64:65], s[10:11], v[44:45]
	v_fma_f64 v[46:47], v[68:69], s[10:11], v[46:47]
	s_delay_alu instid0(VALU_DEP_4) | instskip(NEXT) | instid1(VALU_DEP_3)
	v_add_f64_e32 v[48:49], v[48:49], v[76:77]
	v_add_f64_e64 v[158:159], v[50:51], -v[44:45]
	v_add_f64_e32 v[94:95], v[44:45], v[50:51]
	scratch_load_b32 v44, off, off offset:548 th:TH_LOAD_LU ; 4-byte Folded Reload
	v_add_f64_e32 v[156:157], v[46:47], v[48:49]
	v_add_f64_e64 v[92:93], v[48:49], -v[46:47]
	s_wait_loadcnt 0x0
	ds_store_b128 v44, v[0:3]
	ds_store_b128 v44, v[24:27] offset:192
	ds_store_b128 v44, v[16:19] offset:384
	;; [unrolled: 1-line block ×6, first 2 shown]
	scratch_load_b32 v0, off, off offset:544 th:TH_LOAD_LU ; 4-byte Folded Reload
	s_wait_loadcnt 0x0
	ds_store_b128 v0, v[8:11]
	ds_store_b128 v0, v[40:43] offset:192
	ds_store_b128 v0, v[36:39] offset:384
	;; [unrolled: 1-line block ×6, first 2 shown]
	scratch_load_b32 v0, off, off offset:540 th:TH_LOAD_LU ; 4-byte Folded Reload
	s_wait_loadcnt 0x0
	ds_store_b128 v0, v[112:115]
	ds_store_b128 v0, v[156:159] offset:192
	ds_store_b128 v0, v[160:163] offset:384
	;; [unrolled: 1-line block ×6, first 2 shown]
	global_wb scope:SCOPE_SE
	s_wait_dscnt 0x0
	s_barrier_signal -1
	s_barrier_wait -1
	global_inv scope:SCOPE_SE
	ds_load_b128 v[0:3], v168
	ds_load_b128 v[36:39], v168 offset:1344
	ds_load_b128 v[32:35], v168 offset:2688
	ds_load_b128 v[20:23], v168 offset:4032
	ds_load_b128 v[12:15], v168 offset:5376
	ds_load_b128 v[164:167], v168 offset:6720
	ds_load_b128 v[4:7], v168 offset:8064
	ds_load_b128 v[8:11], v168 offset:9408
	ds_load_b128 v[16:19], v168 offset:10752
	ds_load_b128 v[24:27], v168 offset:12096
	ds_load_b128 v[28:31], v168 offset:13440
	s_and_saveexec_b32 s1, s0
	s_cbranch_execz .LBB0_27
; %bb.26:
	ds_load_b128 v[80:83], v168 offset:704
	ds_load_b128 v[116:119], v168 offset:2048
	;; [unrolled: 1-line block ×11, first 2 shown]
.LBB0_27:
	s_wait_alu 0xfffe
	s_or_b32 exec_lo, exec_lo, s1
	s_wait_dscnt 0x9
	v_mul_f64_e32 v[40:41], v[206:207], v[38:39]
	s_wait_dscnt 0x3
	v_mul_f64_e32 v[44:45], v[242:243], v[10:11]
	v_mul_f64_e32 v[48:49], v[210:211], v[164:165]
	s_mov_b32 s14, 0xf8bb580b
	s_mov_b32 s12, 0x8eee2c13
	;; [unrolled: 1-line block ×10, first 2 shown]
	v_mul_f64_e32 v[50:51], v[222:223], v[4:5]
	s_mov_b32 s18, 0x8764f0ba
	s_mov_b32 s26, 0xd9c712b6
	;; [unrolled: 1-line block ×12, first 2 shown]
	s_wait_alu 0xfffe
	s_mov_b32 s28, s12
	s_mov_b32 s36, s2
	s_mov_b32 s38, s10
	s_mov_b32 s30, s16
	s_mov_b32 s34, s14
	s_delay_alu instid0(VALU_DEP_4) | instskip(SKIP_1) | instid1(VALU_DEP_1)
	v_fma_f64 v[40:41], v[204:205], v[36:37], v[40:41]
	v_mul_f64_e32 v[36:37], v[206:207], v[36:37]
	v_fma_f64 v[42:43], v[204:205], v[38:39], -v[36:37]
	v_mul_f64_e32 v[36:37], v[226:227], v[32:33]
	s_delay_alu instid0(VALU_DEP_2) | instskip(NEXT) | instid1(VALU_DEP_2)
	v_add_f64_e32 v[98:99], v[2:3], v[42:43]
	v_fma_f64 v[36:37], v[224:225], v[34:35], -v[36:37]
	v_mul_f64_e32 v[34:35], v[226:227], v[34:35]
	s_delay_alu instid0(VALU_DEP_1) | instskip(SKIP_2) | instid1(VALU_DEP_1)
	v_fma_f64 v[34:35], v[224:225], v[32:33], v[34:35]
	s_wait_dscnt 0x0
	v_mul_f64_e32 v[32:33], v[214:215], v[28:29]
	v_fma_f64 v[32:33], v[212:213], v[30:31], -v[32:33]
	v_mul_f64_e32 v[30:31], v[214:215], v[30:31]
	s_delay_alu instid0(VALU_DEP_2) | instskip(NEXT) | instid1(VALU_DEP_2)
	v_add_f64_e64 v[46:47], v[42:43], -v[32:33]
	v_fma_f64 v[28:29], v[212:213], v[28:29], v[30:31]
	v_mul_f64_e32 v[30:31], v[230:231], v[20:21]
	s_delay_alu instid0(VALU_DEP_3) | instskip(NEXT) | instid1(VALU_DEP_3)
	v_mul_f64_e32 v[54:55], s[14:15], v[46:47]
	v_add_f64_e32 v[52:53], v[40:41], v[28:29]
	s_delay_alu instid0(VALU_DEP_3) | instskip(SKIP_4) | instid1(VALU_DEP_4)
	v_fma_f64 v[30:31], v[228:229], v[22:23], -v[30:31]
	v_mul_f64_e32 v[22:23], v[230:231], v[22:23]
	v_mul_f64_e32 v[56:57], s[2:3], v[46:47]
	;; [unrolled: 1-line block ×3, first 2 shown]
	v_add_f64_e64 v[74:75], v[40:41], -v[28:29]
	v_fma_f64 v[38:39], v[228:229], v[20:21], v[22:23]
	v_mul_f64_e32 v[22:23], v[218:219], v[26:27]
	v_mul_f64_e32 v[20:21], v[218:219], v[24:25]
	v_fma_f64 v[60:61], v[52:53], s[24:25], v[56:57]
	v_fma_f64 v[56:57], v[52:53], s[24:25], -v[56:57]
	v_fma_f64 v[62:63], v[52:53], s[22:23], v[58:59]
	v_fma_f64 v[58:59], v[52:53], s[22:23], -v[58:59]
	v_fma_f64 v[22:23], v[216:217], v[24:25], v[22:23]
	v_mul_f64_e32 v[24:25], v[238:239], v[16:17]
	v_fma_f64 v[20:21], v[216:217], v[26:27], -v[20:21]
	v_mul_f64_e32 v[26:27], v[234:235], v[12:13]
	v_add_f64_e32 v[60:61], v[0:1], v[60:61]
	v_add_f64_e32 v[120:121], v[34:35], v[22:23]
	v_fma_f64 v[24:25], v[236:237], v[18:19], -v[24:25]
	v_mul_f64_e32 v[18:19], v[238:239], v[18:19]
	v_add_f64_e64 v[102:103], v[36:37], -v[20:21]
	v_add_f64_e32 v[124:125], v[36:37], v[20:21]
	v_add_f64_e64 v[126:127], v[34:35], -v[22:23]
	v_add_f64_e32 v[36:37], v[98:99], v[36:37]
	v_add_f64_e64 v[130:131], v[30:31], -v[24:25]
	v_fma_f64 v[16:17], v[236:237], v[16:17], v[18:19]
	v_mul_f64_e32 v[18:19], v[234:235], v[14:15]
	v_fma_f64 v[14:15], v[232:233], v[14:15], -v[26:27]
	v_mul_f64_e32 v[26:27], v[210:211], v[166:167]
	v_mul_f64_e32 v[122:123], s[12:13], v[102:103]
	v_mul_f64_e32 v[128:129], s[26:27], v[124:125]
	v_add_f64_e32 v[136:137], v[30:31], v[24:25]
	v_mul_f64_e32 v[195:196], s[24:25], v[124:125]
	s_wait_alu 0xfffe
	v_mul_f64_e32 v[193:194], s[36:37], v[102:103]
	v_add_f64_e32 v[30:31], v[36:37], v[30:31]
	v_mul_f64_e32 v[134:135], s[2:3], v[130:131]
	v_add_f64_e32 v[132:133], v[38:39], v[16:17]
	v_fma_f64 v[12:13], v[232:233], v[12:13], v[18:19]
	v_mul_f64_e32 v[18:19], v[242:243], v[8:9]
	v_fma_f64 v[8:9], v[240:241], v[8:9], v[44:45]
	v_mul_f64_e32 v[44:45], v[222:223], v[6:7]
	v_fma_f64 v[6:7], v[220:221], v[6:7], -v[50:51]
	v_fma_f64 v[50:51], v[52:53], s[18:19], -v[54:55]
	v_add_f64_e64 v[138:139], v[38:39], -v[16:17]
	v_mul_f64_e32 v[140:141], s[24:25], v[136:137]
	v_mul_f64_e32 v[197:198], s[18:19], v[136:137]
	v_fma_f64 v[10:11], v[240:241], v[10:11], -v[18:19]
	v_fma_f64 v[18:19], v[208:209], v[164:165], v[26:27]
	v_fma_f64 v[26:27], v[208:209], v[166:167], -v[48:49]
	v_mul_f64_e32 v[48:49], s[12:13], v[46:47]
	v_mul_f64_e32 v[46:47], s[16:17], v[46:47]
	v_fma_f64 v[4:5], v[220:221], v[4:5], v[44:45]
	v_fma_f64 v[44:45], v[52:53], s[18:19], v[54:55]
	v_add_f64_e32 v[100:101], v[0:1], v[50:51]
	v_add_f64_e32 v[144:145], v[12:13], v[8:9]
	v_add_f64_e64 v[166:167], v[12:13], -v[8:9]
	v_mul_f64_e32 v[50:51], s[30:31], v[130:131]
	v_add_f64_e64 v[142:143], v[14:15], -v[10:11]
	v_add_f64_e32 v[164:165], v[14:15], v[10:11]
	v_add_f64_e64 v[171:172], v[26:27], -v[6:7]
	v_fma_f64 v[54:55], v[52:53], s[26:27], v[48:49]
	v_fma_f64 v[48:49], v[52:53], s[26:27], -v[48:49]
	v_fma_f64 v[64:65], v[52:53], s[20:21], v[46:47]
	v_fma_f64 v[46:47], v[52:53], s[20:21], -v[46:47]
	v_add_f64_e32 v[52:53], v[42:43], v[32:33]
	v_add_f64_e32 v[173:174], v[18:19], v[4:5]
	;; [unrolled: 1-line block ×3, first 2 shown]
	v_add_f64_e64 v[179:180], v[18:19], -v[4:5]
	v_add_f64_e32 v[14:15], v[30:31], v[14:15]
	v_mul_f64_e32 v[146:147], s[10:11], v[142:143]
	v_mul_f64_e32 v[169:170], s[22:23], v[164:165]
	;; [unrolled: 1-line block ×4, first 2 shown]
	v_add_f64_e32 v[48:49], v[0:1], v[48:49]
	v_mul_f64_e32 v[201:202], s[20:21], v[164:165]
	v_mul_f64_e32 v[203:204], s[28:29], v[171:172]
	;; [unrolled: 1-line block ×10, first 2 shown]
	v_add_f64_e32 v[14:15], v[14:15], v[26:27]
	v_fma_f64 v[26:27], v[120:121], s[26:27], -v[122:123]
	v_fma_f64 v[96:97], v[74:75], s[34:35], v[66:67]
	v_fma_f64 v[76:77], v[74:75], s[28:29], v[68:69]
	;; [unrolled: 1-line block ×10, first 2 shown]
	v_add_f64_e32 v[74:75], v[0:1], v[40:41]
	v_add_f64_e32 v[40:41], v[0:1], v[44:45]
	;; [unrolled: 1-line block ×4, first 2 shown]
	v_fma_f64 v[14:15], v[126:127], s[36:37], v[195:196]
	v_add_f64_e32 v[26:27], v[26:27], v[100:101]
	v_add_f64_e32 v[42:43], v[2:3], v[96:97]
	;; [unrolled: 1-line block ×11, first 2 shown]
	v_fma_f64 v[0:1], v[120:121], s[26:27], v[122:123]
	v_add_f64_e32 v[68:69], v[2:3], v[68:69]
	v_add_f64_e32 v[96:97], v[2:3], v[52:53]
	;; [unrolled: 1-line block ×5, first 2 shown]
	v_fma_f64 v[2:3], v[126:127], s[28:29], v[128:129]
	v_mul_f64_e32 v[46:47], s[10:11], v[102:103]
	v_fma_f64 v[52:53], v[132:133], s[20:21], v[50:51]
	v_add_f64_e32 v[34:35], v[74:75], v[34:35]
	v_add_f64_e32 v[6:7], v[6:7], v[10:11]
	;; [unrolled: 1-line block ×3, first 2 shown]
	v_fma_f64 v[40:41], v[132:133], s[24:25], v[134:135]
	v_add_f64_e32 v[14:15], v[14:15], v[72:73]
	v_add_f64_e32 v[2:3], v[2:3], v[42:43]
	;; [unrolled: 1-line block ×3, first 2 shown]
	v_fma_f64 v[38:39], v[126:127], s[12:13], v[128:129]
	v_add_f64_e32 v[6:7], v[6:7], v[24:25]
	v_fma_f64 v[24:25], v[173:174], s[20:21], -v[175:176]
	v_add_f64_e32 v[0:1], v[40:41], v[0:1]
	v_fma_f64 v[40:41], v[138:139], s[36:37], v[140:141]
	v_add_f64_e32 v[12:13], v[34:35], v[12:13]
	v_fma_f64 v[34:35], v[120:121], s[24:25], -v[193:194]
	s_delay_alu instid0(VALU_DEP_3) | instskip(SKIP_1) | instid1(VALU_DEP_4)
	v_add_f64_e32 v[2:3], v[40:41], v[2:3]
	v_fma_f64 v[40:41], v[144:145], s[22:23], v[146:147]
	v_add_f64_e32 v[12:13], v[12:13], v[18:19]
	s_delay_alu instid0(VALU_DEP_4) | instskip(NEXT) | instid1(VALU_DEP_3)
	v_add_f64_e32 v[34:35], v[34:35], v[88:89]
	v_add_f64_e32 v[0:1], v[40:41], v[0:1]
	v_fma_f64 v[40:41], v[166:167], s[38:39], v[169:170]
	s_delay_alu instid0(VALU_DEP_4) | instskip(NEXT) | instid1(VALU_DEP_2)
	v_add_f64_e32 v[4:5], v[12:13], v[4:5]
	v_add_f64_e32 v[2:3], v[40:41], v[2:3]
	v_fma_f64 v[40:41], v[173:174], s[20:21], v[175:176]
	s_delay_alu instid0(VALU_DEP_3) | instskip(SKIP_2) | instid1(VALU_DEP_4)
	v_add_f64_e32 v[4:5], v[4:5], v[8:9]
	v_add_f64_e32 v[8:9], v[38:39], v[66:67]
	v_fma_f64 v[38:39], v[144:145], s[22:23], -v[146:147]
	v_add_f64_e32 v[0:1], v[40:41], v[0:1]
	v_fma_f64 v[40:41], v[179:180], s[30:31], v[181:182]
	v_add_f64_e32 v[4:5], v[4:5], v[16:17]
	s_delay_alu instid0(VALU_DEP_2) | instskip(SKIP_2) | instid1(VALU_DEP_4)
	v_add_f64_e32 v[2:3], v[40:41], v[2:3]
	v_fma_f64 v[40:41], v[120:121], s[22:23], v[46:47]
	v_fma_f64 v[46:47], v[120:121], s[22:23], -v[46:47]
	v_add_f64_e32 v[22:23], v[4:5], v[22:23]
	s_delay_alu instid0(VALU_DEP_3) | instskip(SKIP_1) | instid1(VALU_DEP_4)
	v_add_f64_e32 v[40:41], v[40:41], v[44:45]
	v_mul_f64_e32 v[44:45], s[22:23], v[124:125]
	v_add_f64_e32 v[46:47], v[46:47], v[48:49]
	v_fma_f64 v[48:49], v[132:133], s[20:21], -v[50:51]
	s_delay_alu instid0(VALU_DEP_4) | instskip(NEXT) | instid1(VALU_DEP_4)
	v_add_f64_e32 v[40:41], v[52:53], v[40:41]
	v_fma_f64 v[42:43], v[126:127], s[38:39], v[44:45]
	v_mul_f64_e32 v[52:53], s[20:21], v[136:137]
	v_fma_f64 v[44:45], v[126:127], s[10:11], v[44:45]
	v_add_f64_e32 v[46:47], v[48:49], v[46:47]
	s_delay_alu instid0(VALU_DEP_4) | instskip(NEXT) | instid1(VALU_DEP_4)
	v_add_f64_e32 v[42:43], v[42:43], v[54:55]
	v_fma_f64 v[54:55], v[138:139], s[16:17], v[52:53]
	s_delay_alu instid0(VALU_DEP_4)
	v_add_f64_e32 v[44:45], v[44:45], v[68:69]
	v_fma_f64 v[48:49], v[138:139], s[30:31], v[52:53]
	v_mul_f64_e32 v[68:69], s[30:31], v[102:103]
	v_mul_f64_e32 v[102:103], s[34:35], v[102:103]
	v_add_f64_e32 v[42:43], v[54:55], v[42:43]
	v_mul_f64_e32 v[54:55], s[36:37], v[142:143]
	v_add_f64_e32 v[44:45], v[48:49], v[44:45]
	v_fma_f64 v[30:31], v[120:121], s[20:21], -v[68:69]
	v_fma_f64 v[18:19], v[120:121], s[18:19], -v[102:103]
	s_delay_alu instid0(VALU_DEP_4) | instskip(SKIP_2) | instid1(VALU_DEP_4)
	v_fma_f64 v[183:184], v[144:145], s[24:25], v[54:55]
	v_fma_f64 v[48:49], v[144:145], s[24:25], -v[54:55]
	v_fma_f64 v[54:55], v[126:127], s[2:3], v[195:196]
	v_add_f64_e32 v[18:19], v[18:19], v[90:91]
	v_add_f64_e32 v[30:31], v[30:31], v[78:79]
	v_fma_f64 v[90:91], v[166:167], s[16:17], v[201:202]
	v_fma_f64 v[78:79], v[166:167], s[10:11], v[169:170]
	v_add_f64_e32 v[40:41], v[183:184], v[40:41]
	v_mul_f64_e32 v[183:184], s[24:25], v[164:165]
	v_add_f64_e32 v[46:47], v[48:49], v[46:47]
	v_add_f64_e32 v[54:55], v[54:55], v[62:63]
	v_mul_f64_e32 v[62:63], s[14:15], v[130:131]
	s_delay_alu instid0(VALU_DEP_4) | instskip(SKIP_2) | instid1(VALU_DEP_3)
	v_fma_f64 v[185:186], v[166:167], s[2:3], v[183:184]
	v_fma_f64 v[48:49], v[166:167], s[36:37], v[183:184]
	v_mul_f64_e32 v[183:184], s[26:27], v[136:137]
	v_add_f64_e32 v[42:43], v[185:186], v[42:43]
	v_mul_f64_e32 v[185:186], s[34:35], v[171:172]
	s_delay_alu instid0(VALU_DEP_4) | instskip(NEXT) | instid1(VALU_DEP_4)
	v_add_f64_e32 v[48:49], v[48:49], v[44:45]
	v_fma_f64 v[98:99], v[138:139], s[28:29], v[183:184]
	s_delay_alu instid0(VALU_DEP_3) | instskip(SKIP_2) | instid1(VALU_DEP_3)
	v_fma_f64 v[187:188], v[173:174], s[18:19], v[185:186]
	v_fma_f64 v[44:45], v[173:174], s[18:19], -v[185:186]
	v_mul_f64_e32 v[185:186], s[14:15], v[142:143]
	v_add_f64_e32 v[40:41], v[187:188], v[40:41]
	v_mul_f64_e32 v[187:188], s[18:19], v[177:178]
	s_delay_alu instid0(VALU_DEP_4) | instskip(NEXT) | instid1(VALU_DEP_4)
	v_add_f64_e32 v[44:45], v[44:45], v[46:47]
	v_fma_f64 v[66:67], v[144:145], s[18:19], -v[185:186]
	s_delay_alu instid0(VALU_DEP_3) | instskip(SKIP_2) | instid1(VALU_DEP_3)
	v_fma_f64 v[50:51], v[179:180], s[34:35], v[187:188]
	v_fma_f64 v[189:190], v[179:180], s[14:15], v[187:188]
	v_mul_f64_e32 v[187:188], s[18:19], v[164:165]
	v_add_f64_e32 v[46:47], v[50:51], v[48:49]
	v_fma_f64 v[48:49], v[120:121], s[20:21], v[68:69]
	s_delay_alu instid0(VALU_DEP_4) | instskip(SKIP_2) | instid1(VALU_DEP_4)
	v_add_f64_e32 v[42:43], v[189:190], v[42:43]
	v_mul_f64_e32 v[189:190], s[10:11], v[171:172]
	v_fma_f64 v[88:89], v[166:167], s[14:15], v[187:188]
	v_add_f64_e32 v[48:49], v[48:49], v[60:61]
	v_mul_f64_e32 v[60:61], s[20:21], v[124:125]
	v_mul_f64_e32 v[124:125], s[18:19], v[124:125]
	s_delay_alu instid0(VALU_DEP_2) | instskip(NEXT) | instid1(VALU_DEP_2)
	v_fma_f64 v[50:51], v[126:127], s[16:17], v[60:61]
	v_fma_f64 v[12:13], v[126:127], s[34:35], v[124:125]
	;; [unrolled: 1-line block ×3, first 2 shown]
	s_delay_alu instid0(VALU_DEP_3) | instskip(SKIP_1) | instid1(VALU_DEP_4)
	v_add_f64_e32 v[50:51], v[50:51], v[76:77]
	v_mul_f64_e32 v[76:77], s[28:29], v[130:131]
	v_add_f64_e32 v[12:13], v[12:13], v[96:97]
	s_delay_alu instid0(VALU_DEP_4) | instskip(SKIP_1) | instid1(VALU_DEP_4)
	v_add_f64_e32 v[36:37], v[36:37], v[70:71]
	v_fma_f64 v[70:71], v[144:145], s[20:21], -v[199:200]
	v_fma_f64 v[52:53], v[132:133], s[26:27], v[76:77]
	v_fma_f64 v[68:69], v[132:133], s[26:27], -v[76:77]
	v_fma_f64 v[76:77], v[138:139], s[2:3], v[140:141]
	v_add_f64_e32 v[36:37], v[98:99], v[36:37]
	s_delay_alu instid0(VALU_DEP_4)
	v_add_f64_e32 v[48:49], v[52:53], v[48:49]
	v_fma_f64 v[52:53], v[138:139], s[12:13], v[183:184]
	v_add_f64_e32 v[30:31], v[68:69], v[30:31]
	v_add_f64_e32 v[8:9], v[76:77], v[8:9]
	v_fma_f64 v[76:77], v[179:180], s[28:29], v[205:206]
	v_fma_f64 v[68:69], v[179:180], s[16:17], v[181:182]
	v_add_f64_e32 v[50:51], v[52:53], v[50:51]
	v_fma_f64 v[52:53], v[144:145], s[18:19], v[185:186]
	s_delay_alu instid0(VALU_DEP_1) | instskip(SKIP_1) | instid1(VALU_DEP_1)
	v_add_f64_e32 v[48:49], v[52:53], v[48:49]
	v_fma_f64 v[52:53], v[166:167], s[34:35], v[187:188]
	v_add_f64_e32 v[50:51], v[52:53], v[50:51]
	v_fma_f64 v[52:53], v[173:174], s[22:23], v[189:190]
	s_delay_alu instid0(VALU_DEP_1) | instskip(SKIP_1) | instid1(VALU_DEP_1)
	v_add_f64_e32 v[48:49], v[52:53], v[48:49]
	v_fma_f64 v[52:53], v[179:180], s[38:39], v[191:192]
	v_add_f64_e32 v[50:51], v[52:53], v[50:51]
	v_fma_f64 v[52:53], v[120:121], s[24:25], v[193:194]
	s_delay_alu instid0(VALU_DEP_1) | instskip(SKIP_2) | instid1(VALU_DEP_2)
	v_add_f64_e32 v[52:53], v[52:53], v[56:57]
	v_fma_f64 v[56:57], v[132:133], s[18:19], v[62:63]
	v_fma_f64 v[62:63], v[132:133], s[18:19], -v[62:63]
	v_add_f64_e32 v[52:53], v[56:57], v[52:53]
	v_fma_f64 v[56:57], v[138:139], s[34:35], v[197:198]
	s_delay_alu instid0(VALU_DEP_3) | instskip(SKIP_1) | instid1(VALU_DEP_3)
	v_add_f64_e32 v[34:35], v[62:63], v[34:35]
	v_fma_f64 v[62:63], v[173:174], s[26:27], -v[203:204]
	v_add_f64_e32 v[54:55], v[56:57], v[54:55]
	v_fma_f64 v[56:57], v[144:145], s[20:21], v[199:200]
	s_delay_alu instid0(VALU_DEP_1) | instskip(SKIP_1) | instid1(VALU_DEP_1)
	v_add_f64_e32 v[52:53], v[56:57], v[52:53]
	v_fma_f64 v[56:57], v[166:167], s[30:31], v[201:202]
	v_add_f64_e32 v[54:55], v[56:57], v[54:55]
	v_fma_f64 v[56:57], v[173:174], s[26:27], v[203:204]
	s_delay_alu instid0(VALU_DEP_1) | instskip(SKIP_1) | instid1(VALU_DEP_1)
	v_add_f64_e32 v[52:53], v[56:57], v[52:53]
	v_fma_f64 v[56:57], v[179:180], s[12:13], v[205:206]
	v_add_f64_e32 v[54:55], v[56:57], v[54:55]
	v_fma_f64 v[56:57], v[120:121], s[18:19], v[102:103]
	v_fma_f64 v[102:103], v[138:139], s[14:15], v[197:198]
	s_delay_alu instid0(VALU_DEP_2) | instskip(SKIP_1) | instid1(VALU_DEP_3)
	v_add_f64_e32 v[56:57], v[56:57], v[58:59]
	v_fma_f64 v[58:59], v[126:127], s[14:15], v[124:125]
	v_add_f64_e32 v[14:15], v[102:103], v[14:15]
	s_delay_alu instid0(VALU_DEP_2) | instskip(SKIP_1) | instid1(VALU_DEP_3)
	v_add_f64_e32 v[58:59], v[58:59], v[64:65]
	v_mul_f64_e32 v[64:65], s[10:11], v[130:131]
	v_add_f64_e32 v[14:15], v[90:91], v[14:15]
	s_delay_alu instid0(VALU_DEP_2) | instskip(SKIP_2) | instid1(VALU_DEP_4)
	v_fma_f64 v[130:131], v[132:133], s[22:23], v[64:65]
	v_fma_f64 v[60:61], v[132:133], s[22:23], -v[64:65]
	v_fma_f64 v[64:65], v[132:133], s[24:25], -v[134:135]
	v_add_f64_e32 v[14:15], v[76:77], v[14:15]
	s_delay_alu instid0(VALU_DEP_4) | instskip(SKIP_4) | instid1(VALU_DEP_4)
	v_add_f64_e32 v[56:57], v[130:131], v[56:57]
	v_mul_f64_e32 v[130:131], s[22:23], v[136:137]
	v_add_f64_e32 v[18:19], v[60:61], v[18:19]
	v_add_f64_e32 v[26:27], v[64:65], v[26:27]
	v_fma_f64 v[60:61], v[173:174], s[22:23], -v[189:190]
	v_fma_f64 v[136:137], v[138:139], s[38:39], v[130:131]
	v_fma_f64 v[74:75], v[138:139], s[10:11], v[130:131]
	s_delay_alu instid0(VALU_DEP_4) | instskip(SKIP_1) | instid1(VALU_DEP_4)
	v_add_f64_e32 v[26:27], v[38:39], v[26:27]
	v_add_f64_e32 v[38:39], v[78:79], v[8:9]
	;; [unrolled: 1-line block ×3, first 2 shown]
	v_mul_f64_e32 v[136:137], s[28:29], v[142:143]
	v_add_f64_e32 v[12:13], v[74:75], v[12:13]
	v_fma_f64 v[74:75], v[179:180], s[10:11], v[191:192]
	s_delay_alu instid0(VALU_DEP_3) | instskip(SKIP_1) | instid1(VALU_DEP_2)
	v_fma_f64 v[142:143], v[144:145], s[26:27], v[136:137]
	v_fma_f64 v[10:11], v[144:145], s[26:27], -v[136:137]
	v_add_f64_e32 v[56:57], v[142:143], v[56:57]
	v_mul_f64_e32 v[142:143], s[26:27], v[164:165]
	s_delay_alu instid0(VALU_DEP_3)
	v_add_f64_e32 v[10:11], v[10:11], v[18:19]
	v_add_f64_e32 v[18:19], v[66:67], v[30:31]
	;; [unrolled: 1-line block ×6, first 2 shown]
	v_fma_f64 v[164:165], v[166:167], s[12:13], v[142:143]
	v_fma_f64 v[72:73], v[166:167], s[28:29], v[142:143]
	v_add_f64_e32 v[8:9], v[60:61], v[18:19]
	v_add_f64_e32 v[18:19], v[68:69], v[38:39]
	v_add_f64_e32 v[22:23], v[36:37], v[32:33]
	v_add_f64_e32 v[58:59], v[164:165], v[58:59]
	v_mul_f64_e32 v[164:165], s[2:3], v[171:172]
	v_mul_f64_e32 v[171:172], s[24:25], v[177:178]
	v_add_f64_e32 v[12:13], v[72:73], v[12:13]
	s_delay_alu instid0(VALU_DEP_3) | instskip(SKIP_1) | instid1(VALU_DEP_4)
	v_fma_f64 v[177:178], v[173:174], s[24:25], v[164:165]
	v_fma_f64 v[16:17], v[173:174], s[24:25], -v[164:165]
	v_fma_f64 v[64:65], v[179:180], s[2:3], v[171:172]
	s_delay_alu instid0(VALU_DEP_3) | instskip(SKIP_1) | instid1(VALU_DEP_4)
	v_add_f64_e32 v[56:57], v[177:178], v[56:57]
	v_fma_f64 v[177:178], v[179:180], s[36:37], v[171:172]
	v_add_f64_e32 v[4:5], v[16:17], v[10:11]
	s_delay_alu instid0(VALU_DEP_4)
	v_add_f64_e32 v[6:7], v[64:65], v[12:13]
	v_add_f64_e32 v[12:13], v[62:63], v[30:31]
	;; [unrolled: 1-line block ×5, first 2 shown]
	ds_store_b128 v168, v[40:43] offset:2688
	ds_store_b128 v168, v[48:51] offset:4032
	;; [unrolled: 1-line block ×9, first 2 shown]
	ds_store_b128 v168, v[20:23]
	ds_store_b128 v168, v[16:19] offset:13440
	s_and_saveexec_b32 s1, s0
	s_cbranch_execz .LBB0_29
; %bb.28:
	s_clause 0x4
	scratch_load_b128 v[2:5], off, off offset:776 th:TH_LOAD_LU
	scratch_load_b128 v[20:23], off, off offset:840 th:TH_LOAD_LU
	;; [unrolled: 1-line block ×5, first 2 shown]
	s_wait_loadcnt 0x4
	v_mul_f64_e32 v[0:1], v[4:5], v[116:117]
	s_delay_alu instid0(VALU_DEP_1) | instskip(SKIP_1) | instid1(VALU_DEP_1)
	v_fma_f64 v[24:25], v[2:3], v[118:119], -v[0:1]
	v_mul_f64_e32 v[0:1], v[4:5], v[118:119]
	v_fma_f64 v[26:27], v[2:3], v[116:117], v[0:1]
	scratch_load_b128 v[2:5], off, off offset:808 th:TH_LOAD_LU ; 16-byte Folded Reload
	s_wait_loadcnt 0x0
	v_mul_f64_e32 v[0:1], v[4:5], v[162:163]
	s_delay_alu instid0(VALU_DEP_1) | instskip(SKIP_1) | instid1(VALU_DEP_1)
	v_fma_f64 v[10:11], v[2:3], v[160:161], v[0:1]
	v_mul_f64_e32 v[0:1], v[4:5], v[160:161]
	v_fma_f64 v[14:15], v[2:3], v[162:163], -v[0:1]
	scratch_load_b128 v[2:5], off, off offset:824 th:TH_LOAD_LU ; 16-byte Folded Reload
	s_wait_loadcnt 0x0
	v_mul_f64_e32 v[0:1], v[4:5], v[150:151]
	s_delay_alu instid0(VALU_DEP_1) | instskip(SKIP_1) | instid1(VALU_DEP_2)
	v_fma_f64 v[8:9], v[2:3], v[148:149], v[0:1]
	v_mul_f64_e32 v[0:1], v[4:5], v[148:149]
	v_add_f64_e64 v[118:119], v[10:11], -v[8:9]
	s_delay_alu instid0(VALU_DEP_2)
	v_fma_f64 v[12:13], v[2:3], v[150:151], -v[0:1]
	scratch_load_b128 v[2:5], off, off offset:792 th:TH_LOAD_LU ; 16-byte Folded Reload
	v_add_f64_e32 v[126:127], v[10:11], v[8:9]
	v_mul_f64_e32 v[122:123], s[2:3], v[118:119]
	v_add_f64_e64 v[124:125], v[14:15], -v[12:13]
	v_add_f64_e32 v[120:121], v[14:15], v[12:13]
	v_mul_f64_e32 v[142:143], s[10:11], v[118:119]
	s_delay_alu instid0(VALU_DEP_3) | instskip(SKIP_3) | instid1(VALU_DEP_1)
	v_mul_f64_e32 v[128:129], s[2:3], v[124:125]
	v_mul_f64_e32 v[144:145], s[10:11], v[124:125]
	s_wait_loadcnt 0x0
	v_mul_f64_e32 v[0:1], v[4:5], v[158:159]
	v_fma_f64 v[16:17], v[2:3], v[156:157], v[0:1]
	v_mul_f64_e32 v[0:1], v[4:5], v[156:157]
	s_delay_alu instid0(VALU_DEP_1) | instskip(SKIP_1) | instid1(VALU_DEP_1)
	v_fma_f64 v[18:19], v[2:3], v[158:159], -v[0:1]
	v_mul_f64_e32 v[0:1], v[22:23], v[154:155]
	v_fma_f64 v[4:5], v[20:21], v[152:153], v[0:1]
	v_mul_f64_e32 v[0:1], v[22:23], v[152:153]
	s_delay_alu instid0(VALU_DEP_1) | instskip(SKIP_1) | instid1(VALU_DEP_1)
	v_fma_f64 v[6:7], v[20:21], v[154:155], -v[0:1]
	v_mul_f64_e32 v[0:1], v[30:31], v[114:115]
	v_fma_f64 v[20:21], v[28:29], v[112:113], v[0:1]
	v_mul_f64_e32 v[0:1], v[30:31], v[112:113]
	scratch_load_b128 v[30:33], off, off offset:856 th:TH_LOAD_LU ; 16-byte Folded Reload
	v_add_f64_e32 v[112:113], v[16:17], v[4:5]
	v_fma_f64 v[22:23], v[28:29], v[114:115], -v[0:1]
	v_mul_f64_e32 v[28:29], v[40:41], v[110:111]
	s_delay_alu instid0(VALU_DEP_1) | instskip(SKIP_1) | instid1(VALU_DEP_2)
	v_fma_f64 v[48:49], v[38:39], v[108:109], v[28:29]
	v_mul_f64_e32 v[28:29], v[46:47], v[94:95]
	v_add_f64_e32 v[100:101], v[20:21], v[48:49]
	s_delay_alu instid0(VALU_DEP_2) | instskip(SKIP_3) | instid1(VALU_DEP_2)
	v_fma_f64 v[56:57], v[44:45], v[92:93], v[28:29]
	s_wait_loadcnt 0x0
	v_mul_f64_e32 v[0:1], v[32:33], v[106:107]
	v_mul_f64_e32 v[2:3], v[32:33], v[104:105]
	v_fma_f64 v[0:1], v[30:31], v[104:105], v[0:1]
	s_delay_alu instid0(VALU_DEP_2)
	v_fma_f64 v[2:3], v[30:31], v[106:107], -v[2:3]
	v_mul_f64_e32 v[30:31], v[40:41], v[108:109]
	scratch_load_b128 v[40:43], off, off offset:708 th:TH_LOAD_LU ; 16-byte Folded Reload
	v_add_f64_e32 v[106:107], v[18:19], v[6:7]
	v_add_f64_e64 v[34:35], v[26:27], -v[0:1]
	v_add_f64_e32 v[70:71], v[26:27], v[0:1]
	v_fma_f64 v[50:51], v[38:39], v[110:111], -v[30:31]
	v_mul_f64_e32 v[30:31], v[46:47], v[92:93]
	s_delay_alu instid0(VALU_DEP_4) | instskip(NEXT) | instid1(VALU_DEP_3)
	v_mul_f64_e32 v[38:39], s[16:17], v[34:35]
	v_add_f64_e32 v[96:97], v[22:23], v[50:51]
	s_delay_alu instid0(VALU_DEP_3)
	v_fma_f64 v[58:59], v[44:45], v[94:95], -v[30:31]
	v_add_f64_e64 v[94:95], v[20:21], -v[48:49]
	s_wait_loadcnt 0x0
	v_mul_f64_e32 v[32:33], v[42:43], v[86:87]
	v_mul_f64_e32 v[36:37], v[42:43], v[84:85]
	v_mul_f64_e32 v[42:43], s[12:13], v[34:35]
	s_delay_alu instid0(VALU_DEP_3) | instskip(SKIP_1) | instid1(VALU_DEP_4)
	v_fma_f64 v[52:53], v[40:41], v[84:85], v[32:33]
	v_add_f64_e32 v[32:33], v[24:25], v[2:3]
	v_fma_f64 v[54:55], v[40:41], v[86:87], -v[36:37]
	v_mul_f64_e32 v[36:37], s[10:11], v[34:35]
	v_mul_f64_e32 v[40:41], s[2:3], v[34:35]
	;; [unrolled: 1-line block ×3, first 2 shown]
	v_add_f64_e32 v[86:87], v[80:81], v[26:27]
	v_add_f64_e32 v[92:93], v[52:53], v[56:57]
	v_fma_f64 v[28:29], v[32:33], s[20:21], v[38:39]
	v_fma_f64 v[30:31], v[32:33], s[20:21], -v[38:39]
	v_fma_f64 v[38:39], v[32:33], s[22:23], v[36:37]
	v_fma_f64 v[36:37], v[32:33], s[22:23], -v[36:37]
	;; [unrolled: 2-line block ×3, first 2 shown]
	v_fma_f64 v[46:47], v[32:33], s[26:27], -v[42:43]
	v_fma_f64 v[42:43], v[32:33], s[26:27], v[42:43]
	v_fma_f64 v[60:61], v[32:33], s[18:19], v[34:35]
	v_fma_f64 v[32:33], v[32:33], s[18:19], -v[34:35]
	v_add_f64_e64 v[34:35], v[24:25], -v[2:3]
	v_add_f64_e32 v[88:89], v[54:55], v[58:59]
	v_add_f64_e64 v[90:91], v[54:55], -v[58:59]
	v_add_f64_e32 v[38:39], v[82:83], v[38:39]
	v_add_f64_e32 v[36:37], v[82:83], v[36:37]
	;; [unrolled: 1-line block ×3, first 2 shown]
	v_mul_f64_e32 v[62:63], s[16:17], v[34:35]
	v_mul_f64_e32 v[64:65], s[10:11], v[34:35]
	;; [unrolled: 1-line block ×6, first 2 shown]
	v_fma_f64 v[72:73], v[70:71], s[20:21], -v[62:63]
	v_fma_f64 v[62:63], v[70:71], s[20:21], v[62:63]
	v_fma_f64 v[74:75], v[70:71], s[22:23], -v[64:65]
	v_fma_f64 v[76:77], v[70:71], s[24:25], v[66:67]
	v_fma_f64 v[78:79], v[70:71], s[26:27], v[68:69]
	;; [unrolled: 1-line block ×4, first 2 shown]
	v_fma_f64 v[66:67], v[70:71], s[24:25], -v[66:67]
	v_fma_f64 v[68:69], v[70:71], s[26:27], -v[68:69]
	;; [unrolled: 1-line block ×3, first 2 shown]
	v_add_f64_e32 v[70:71], v[82:83], v[24:25]
	v_add_f64_e32 v[24:25], v[82:83], v[28:29]
	;; [unrolled: 1-line block ×14, first 2 shown]
	v_add_f64_e64 v[84:85], v[52:53], -v[56:57]
	v_add_f64_e32 v[64:65], v[80:81], v[64:65]
	v_add_f64_e32 v[66:67], v[80:81], v[66:67]
	;; [unrolled: 1-line block ×6, first 2 shown]
	v_fma_f64 v[86:87], v[92:93], s[20:21], -v[132:133]
	v_mul_f64_e32 v[32:33], s[34:35], v[84:85]
	v_mul_f64_e32 v[130:131], s[30:31], v[84:85]
	v_add_f64_e32 v[20:21], v[52:53], v[20:21]
	v_mul_f64_e32 v[52:53], s[12:13], v[84:85]
	v_add_f64_e32 v[66:67], v[86:87], v[66:67]
	v_fma_f64 v[34:35], v[88:89], s[18:19], v[32:33]
	v_fma_f64 v[32:33], v[88:89], s[18:19], -v[32:33]
	s_delay_alu instid0(VALU_DEP_4) | instskip(SKIP_1) | instid1(VALU_DEP_4)
	v_fma_f64 v[70:71], v[88:89], s[26:27], v[52:53]
	v_fma_f64 v[52:53], v[88:89], s[26:27], -v[52:53]
	v_add_f64_e32 v[24:25], v[34:35], v[24:25]
	v_mul_f64_e32 v[34:35], s[34:35], v[90:91]
	v_add_f64_e32 v[28:29], v[32:33], v[28:29]
	v_add_f64_e32 v[60:61], v[70:71], v[60:61]
	v_add_f64_e32 v[52:53], v[52:53], v[78:79]
	s_delay_alu instid0(VALU_DEP_4) | instskip(SKIP_2) | instid1(VALU_DEP_3)
	v_fma_f64 v[42:43], v[92:93], s[18:19], -v[34:35]
	v_fma_f64 v[32:33], v[92:93], s[18:19], v[34:35]
	v_fma_f64 v[34:35], v[126:127], s[24:25], v[128:129]
	v_add_f64_e32 v[26:27], v[42:43], v[26:27]
	v_mul_f64_e32 v[42:43], s[10:11], v[94:95]
	s_delay_alu instid0(VALU_DEP_4) | instskip(NEXT) | instid1(VALU_DEP_2)
	v_add_f64_e32 v[30:31], v[32:33], v[30:31]
	v_fma_f64 v[98:99], v[96:97], s[22:23], v[42:43]
	v_fma_f64 v[32:33], v[96:97], s[22:23], -v[42:43]
	v_mul_f64_e32 v[42:43], s[36:37], v[84:85]
	s_delay_alu instid0(VALU_DEP_3) | instskip(SKIP_1) | instid1(VALU_DEP_4)
	v_add_f64_e32 v[24:25], v[98:99], v[24:25]
	v_add_f64_e64 v[98:99], v[22:23], -v[50:51]
	v_add_f64_e32 v[28:29], v[32:33], v[28:29]
	v_add_f64_e32 v[22:23], v[54:55], v[22:23]
	v_fma_f64 v[54:55], v[88:89], s[20:21], v[130:131]
	s_delay_alu instid0(VALU_DEP_4) | instskip(NEXT) | instid1(VALU_DEP_2)
	v_mul_f64_e32 v[102:103], s[10:11], v[98:99]
	v_add_f64_e32 v[54:55], v[54:55], v[72:73]
	s_delay_alu instid0(VALU_DEP_2) | instskip(SKIP_1) | instid1(VALU_DEP_2)
	v_fma_f64 v[104:105], v[100:101], s[22:23], -v[102:103]
	v_fma_f64 v[32:33], v[100:101], s[22:23], v[102:103]
	v_add_f64_e32 v[26:27], v[104:105], v[26:27]
	v_add_f64_e64 v[104:105], v[16:17], -v[4:5]
	s_delay_alu instid0(VALU_DEP_3) | instskip(SKIP_2) | instid1(VALU_DEP_4)
	v_add_f64_e32 v[30:31], v[32:33], v[30:31]
	v_add_f64_e32 v[16:17], v[20:21], v[16:17]
	v_mul_f64_e32 v[20:21], s[2:3], v[98:99]
	v_mul_f64_e32 v[108:109], s[28:29], v[104:105]
	s_delay_alu instid0(VALU_DEP_3) | instskip(SKIP_1) | instid1(VALU_DEP_3)
	v_add_f64_e32 v[10:11], v[16:17], v[10:11]
	v_mul_f64_e32 v[16:17], s[10:11], v[104:105]
	v_fma_f64 v[110:111], v[106:107], s[26:27], v[108:109]
	v_fma_f64 v[32:33], v[106:107], s[26:27], -v[108:109]
	s_delay_alu instid0(VALU_DEP_4) | instskip(NEXT) | instid1(VALU_DEP_3)
	v_add_f64_e32 v[8:9], v[10:11], v[8:9]
	v_add_f64_e32 v[24:25], v[110:111], v[24:25]
	v_add_f64_e64 v[110:111], v[18:19], -v[6:7]
	s_delay_alu instid0(VALU_DEP_4)
	v_add_f64_e32 v[28:29], v[32:33], v[28:29]
	v_add_f64_e32 v[18:19], v[22:23], v[18:19]
	;; [unrolled: 1-line block ×3, first 2 shown]
	v_mul_f64_e32 v[8:9], s[16:17], v[118:119]
	v_mul_f64_e32 v[114:115], s[28:29], v[110:111]
	;; [unrolled: 1-line block ×3, first 2 shown]
	v_add_f64_e32 v[14:15], v[18:19], v[14:15]
	v_add_f64_e32 v[4:5], v[4:5], v[48:49]
	v_fma_f64 v[78:79], v[120:121], s[20:21], -v[8:9]
	v_mul_f64_e32 v[48:49], s[16:17], v[124:125]
	v_fma_f64 v[32:33], v[112:113], s[26:27], v[114:115]
	v_fma_f64 v[116:117], v[112:113], s[26:27], -v[114:115]
	v_add_f64_e32 v[12:13], v[14:15], v[12:13]
	v_add_f64_e32 v[56:57], v[4:5], v[56:57]
	s_delay_alu instid0(VALU_DEP_4)
	v_add_f64_e32 v[32:33], v[32:33], v[30:31]
	v_fma_f64 v[30:31], v[120:121], s[24:25], -v[122:123]
	v_add_f64_e32 v[116:117], v[116:117], v[26:27]
	v_fma_f64 v[26:27], v[120:121], s[24:25], v[122:123]
	v_mul_f64_e32 v[122:123], s[28:29], v[118:119]
	v_add_f64_e32 v[6:7], v[12:13], v[6:7]
	v_fma_f64 v[12:13], v[120:121], s[22:23], v[142:143]
	v_add_f64_e32 v[0:1], v[56:57], v[0:1]
	v_add_f64_e32 v[30:31], v[30:31], v[28:29]
	;; [unrolled: 1-line block ×3, first 2 shown]
	v_fma_f64 v[32:33], v[88:89], s[24:25], v[42:43]
	v_fma_f64 v[42:43], v[88:89], s[24:25], -v[42:43]
	v_add_f64_e32 v[26:27], v[26:27], v[24:25]
	v_fma_f64 v[24:25], v[126:127], s[24:25], -v[128:129]
	v_mul_f64_e32 v[128:129], s[28:29], v[124:125]
	v_add_f64_e32 v[6:7], v[6:7], v[50:51]
	v_fma_f64 v[50:51], v[126:127], s[22:23], -v[144:145]
	v_add_f64_e32 v[32:33], v[32:33], v[38:39]
	v_mul_f64_e32 v[38:39], s[36:37], v[90:91]
	v_add_f64_e32 v[36:37], v[42:43], v[36:37]
	v_add_f64_e32 v[24:25], v[24:25], v[116:117]
	s_delay_alu instid0(VALU_DEP_3) | instskip(SKIP_1) | instid1(VALU_DEP_2)
	v_fma_f64 v[34:35], v[92:93], s[24:25], -v[38:39]
	v_fma_f64 v[38:39], v[92:93], s[24:25], v[38:39]
	v_add_f64_e32 v[34:35], v[34:35], v[62:63]
	v_mul_f64_e32 v[62:63], s[14:15], v[94:95]
	s_delay_alu instid0(VALU_DEP_3) | instskip(SKIP_1) | instid1(VALU_DEP_3)
	v_add_f64_e32 v[38:39], v[38:39], v[64:65]
	v_mul_f64_e32 v[64:65], s[10:11], v[90:91]
	v_fma_f64 v[102:103], v[96:97], s[18:19], v[62:63]
	v_fma_f64 v[42:43], v[96:97], s[18:19], -v[62:63]
	v_fma_f64 v[62:63], v[126:127], s[26:27], v[128:129]
	s_delay_alu instid0(VALU_DEP_3) | instskip(SKIP_1) | instid1(VALU_DEP_4)
	v_add_f64_e32 v[32:33], v[102:103], v[32:33]
	v_mul_f64_e32 v[102:103], s[14:15], v[98:99]
	v_add_f64_e32 v[36:37], v[42:43], v[36:37]
	s_delay_alu instid0(VALU_DEP_2) | instskip(SKIP_2) | instid1(VALU_DEP_3)
	v_fma_f64 v[108:109], v[100:101], s[18:19], -v[102:103]
	v_fma_f64 v[42:43], v[100:101], s[18:19], v[102:103]
	v_mul_f64_e32 v[102:103], s[30:31], v[94:95]
	v_add_f64_e32 v[34:35], v[108:109], v[34:35]
	v_mul_f64_e32 v[108:109], s[16:17], v[104:105]
	s_delay_alu instid0(VALU_DEP_4) | instskip(NEXT) | instid1(VALU_DEP_2)
	v_add_f64_e32 v[38:39], v[42:43], v[38:39]
	v_fma_f64 v[114:115], v[106:107], s[20:21], v[108:109]
	v_fma_f64 v[42:43], v[106:107], s[20:21], -v[108:109]
	v_mul_f64_e32 v[108:109], s[30:31], v[98:99]
	s_delay_alu instid0(VALU_DEP_3) | instskip(SKIP_1) | instid1(VALU_DEP_4)
	v_add_f64_e32 v[32:33], v[114:115], v[32:33]
	v_mul_f64_e32 v[114:115], s[16:17], v[110:111]
	v_add_f64_e32 v[36:37], v[42:43], v[36:37]
	s_delay_alu instid0(VALU_DEP_2) | instskip(SKIP_2) | instid1(VALU_DEP_3)
	v_fma_f64 v[42:43], v[112:113], s[20:21], v[114:115]
	v_fma_f64 v[116:117], v[112:113], s[20:21], -v[114:115]
	v_mul_f64_e32 v[114:115], s[36:37], v[104:105]
	v_add_f64_e32 v[42:43], v[42:43], v[38:39]
	v_fma_f64 v[38:39], v[120:121], s[26:27], -v[122:123]
	s_delay_alu instid0(VALU_DEP_4) | instskip(SKIP_2) | instid1(VALU_DEP_4)
	v_add_f64_e32 v[116:117], v[116:117], v[34:35]
	v_fma_f64 v[34:35], v[120:121], s[26:27], v[122:123]
	v_mul_f64_e32 v[122:123], s[34:35], v[118:119]
	v_add_f64_e32 v[38:39], v[38:39], v[36:37]
	v_add_f64_e32 v[36:37], v[62:63], v[42:43]
	v_mul_f64_e32 v[62:63], s[10:11], v[84:85]
	v_add_f64_e32 v[34:35], v[34:35], v[32:33]
	v_fma_f64 v[32:33], v[126:127], s[26:27], -v[128:129]
	v_mul_f64_e32 v[128:129], s[34:35], v[124:125]
	v_mul_f64_e32 v[84:85], s[12:13], v[90:91]
	v_mul_f64_e32 v[90:91], s[2:3], v[94:95]
	v_fma_f64 v[72:73], v[120:121], s[18:19], v[122:123]
	v_fma_f64 v[42:43], v[88:89], s[22:23], -v[62:63]
	v_fma_f64 v[62:63], v[88:89], s[22:23], v[62:63]
	v_add_f64_e32 v[32:33], v[32:33], v[116:117]
	v_mul_f64_e32 v[116:117], s[36:37], v[110:111]
	s_delay_alu instid0(VALU_DEP_4) | instskip(SKIP_4) | instid1(VALU_DEP_4)
	v_add_f64_e32 v[40:41], v[42:43], v[40:41]
	v_fma_f64 v[42:43], v[92:93], s[22:23], v[64:65]
	v_fma_f64 v[64:65], v[92:93], s[22:23], -v[64:65]
	v_add_f64_e32 v[62:63], v[62:63], v[76:77]
	v_fma_f64 v[76:77], v[120:121], s[20:21], v[8:9]
	v_add_f64_e32 v[42:43], v[42:43], v[46:47]
	v_fma_f64 v[46:47], v[96:97], s[20:21], -v[102:103]
	v_add_f64_e32 v[64:65], v[64:65], v[68:69]
	s_delay_alu instid0(VALU_DEP_2) | instskip(SKIP_1) | instid1(VALU_DEP_1)
	v_add_f64_e32 v[40:41], v[46:47], v[40:41]
	v_fma_f64 v[46:47], v[100:101], s[20:21], v[108:109]
	v_add_f64_e32 v[42:43], v[46:47], v[42:43]
	v_fma_f64 v[46:47], v[106:107], s[24:25], -v[114:115]
	s_delay_alu instid0(VALU_DEP_1) | instskip(SKIP_1) | instid1(VALU_DEP_1)
	v_add_f64_e32 v[40:41], v[46:47], v[40:41]
	v_fma_f64 v[46:47], v[112:113], s[24:25], v[116:117]
	v_add_f64_e32 v[46:47], v[46:47], v[42:43]
	v_fma_f64 v[42:43], v[120:121], s[18:19], -v[122:123]
	s_delay_alu instid0(VALU_DEP_1) | instskip(SKIP_1) | instid1(VALU_DEP_1)
	v_add_f64_e32 v[42:43], v[42:43], v[40:41]
	v_fma_f64 v[40:41], v[126:127], s[18:19], v[128:129]
	v_add_f64_e32 v[40:41], v[40:41], v[46:47]
	v_fma_f64 v[46:47], v[88:89], s[20:21], -v[130:131]
	v_fma_f64 v[88:89], v[92:93], s[26:27], -v[84:85]
	v_fma_f64 v[84:85], v[92:93], s[26:27], v[84:85]
	s_delay_alu instid0(VALU_DEP_3) | instskip(SKIP_2) | instid1(VALU_DEP_4)
	v_add_f64_e32 v[44:45], v[46:47], v[44:45]
	v_fma_f64 v[46:47], v[92:93], s[20:21], v[132:133]
	v_fma_f64 v[92:93], v[96:97], s[20:21], v[102:103]
	v_add_f64_e32 v[68:69], v[84:85], v[82:83]
	v_add_f64_e32 v[70:71], v[88:89], v[80:81]
	v_fma_f64 v[102:103], v[106:107], s[22:23], v[16:17]
	v_fma_f64 v[16:17], v[106:107], s[22:23], -v[16:17]
	v_add_f64_e32 v[46:47], v[46:47], v[74:75]
	v_mul_f64_e32 v[74:75], s[28:29], v[94:95]
	v_fma_f64 v[94:95], v[96:97], s[24:25], v[90:91]
	v_fma_f64 v[90:91], v[96:97], s[24:25], -v[90:91]
	s_delay_alu instid0(VALU_DEP_3) | instskip(SKIP_2) | instid1(VALU_DEP_4)
	v_fma_f64 v[134:135], v[96:97], s[26:27], -v[74:75]
	v_fma_f64 v[74:75], v[96:97], s[26:27], v[74:75]
	v_fma_f64 v[96:97], v[100:101], s[20:21], -v[108:109]
	v_add_f64_e32 v[52:53], v[90:91], v[52:53]
	v_add_f64_e32 v[60:61], v[94:95], v[60:61]
	;; [unrolled: 1-line block ×3, first 2 shown]
	v_mul_f64_e32 v[134:135], s[28:29], v[98:99]
	v_fma_f64 v[98:99], v[100:101], s[24:25], -v[20:21]
	v_fma_f64 v[20:21], v[100:101], s[24:25], v[20:21]
	v_add_f64_e32 v[8:9], v[74:75], v[54:55]
	v_add_f64_e32 v[54:55], v[92:93], v[62:63]
	;; [unrolled: 1-line block ×5, first 2 shown]
	v_fma_f64 v[136:137], v[100:101], s[26:27], v[134:135]
	v_fma_f64 v[22:23], v[100:101], s[26:27], -v[134:135]
	v_fma_f64 v[100:101], v[106:107], s[24:25], v[114:115]
	v_add_f64_e32 v[20:21], v[20:21], v[68:69]
	v_add_f64_e32 v[64:65], v[98:99], v[70:71]
	v_fma_f64 v[68:69], v[126:127], s[20:21], -v[48:49]
	v_fma_f64 v[48:49], v[126:127], s[20:21], v[48:49]
	v_add_f64_e32 v[2:3], v[52:53], v[2:3]
	v_add_f64_e32 v[46:47], v[136:137], v[46:47]
	v_mul_f64_e32 v[136:137], s[14:15], v[104:105]
	v_add_f64_e32 v[22:23], v[22:23], v[66:67]
	v_fma_f64 v[104:105], v[112:113], s[24:25], -v[116:117]
	v_fma_f64 v[66:67], v[126:127], s[18:19], -v[128:129]
	s_delay_alu instid0(VALU_DEP_4) | instskip(SKIP_3) | instid1(VALU_DEP_4)
	v_fma_f64 v[138:139], v[106:107], s[18:19], -v[136:137]
	v_fma_f64 v[18:19], v[106:107], s[18:19], v[136:137]
	v_fma_f64 v[106:107], v[112:113], s[22:23], -v[10:11]
	v_fma_f64 v[10:11], v[112:113], s[22:23], v[10:11]
	v_add_f64_e32 v[44:45], v[138:139], v[44:45]
	v_mul_f64_e32 v[138:139], s[14:15], v[110:111]
	v_add_f64_e32 v[8:9], v[18:19], v[8:9]
	v_add_f64_e32 v[18:19], v[100:101], v[54:55]
	;; [unrolled: 1-line block ×5, first 2 shown]
	v_fma_f64 v[140:141], v[112:113], s[18:19], v[138:139]
	v_fma_f64 v[14:15], v[112:113], s[18:19], -v[138:139]
	v_add_f64_e32 v[6:7], v[12:13], v[8:9]
	v_add_f64_e32 v[10:11], v[72:73], v[18:19]
	;; [unrolled: 1-line block ×6, first 2 shown]
	v_fma_f64 v[46:47], v[120:121], s[22:23], -v[142:143]
	v_add_f64_e32 v[14:15], v[14:15], v[22:23]
	v_add_f64_e32 v[22:23], v[104:105], v[62:63]
	s_delay_alu instid0(VALU_DEP_3) | instskip(SKIP_1) | instid1(VALU_DEP_4)
	v_add_f64_e32 v[46:47], v[46:47], v[44:45]
	v_fma_f64 v[44:45], v[126:127], s[22:23], v[144:145]
	v_add_f64_e32 v[4:5], v[50:51], v[14:15]
	s_delay_alu instid0(VALU_DEP_4) | instskip(SKIP_1) | instid1(VALU_DEP_4)
	v_add_f64_e32 v[8:9], v[66:67], v[22:23]
	v_add_f64_e32 v[14:15], v[76:77], v[54:55]
	v_add_f64_e32 v[44:45], v[44:45], v[140:141]
	ds_store_b128 v168, v[40:43] offset:3392
	ds_store_b128 v168, v[44:47] offset:4736
	;; [unrolled: 1-line block ×11, first 2 shown]
.LBB0_29:
	s_wait_alu 0xfffe
	s_or_b32 exec_lo, exec_lo, s1
	global_wb scope:SCOPE_SE
	s_wait_dscnt 0x0
	s_barrier_signal -1
	s_barrier_wait -1
	global_inv scope:SCOPE_SE
	ds_load_b128 v[0:3], v168
	ds_load_b128 v[4:7], v168 offset:7392
	ds_load_b128 v[8:11], v168 offset:704
	;; [unrolled: 1-line block ×5, first 2 shown]
	s_clause 0x4
	scratch_load_b128 v[98:101], off, off offset:20 th:TH_LOAD_LU
	scratch_load_b128 v[104:107], off, off offset:52 th:TH_LOAD_LU
	scratch_load_b64 v[28:29], off, off offset:12 th:TH_LOAD_LU
	scratch_load_b32 v97, off, off th:TH_LOAD_LU
	scratch_load_b128 v[116:119], off, off offset:180 th:TH_LOAD_LU
	ds_load_b128 v[24:27], v168 offset:8800
	s_movk_i32 s10, 0xfe5e
	s_mul_u64 s[0:1], s[4:5], 0x1ce
	s_mov_b32 s11, -1
	s_mov_b32 s2, 0x4046ed29
	s_mov_b32 s3, 0x3f51bb4a
	s_wait_loadcnt_dscnt 0x406
	v_mul_f64_e32 v[64:65], v[100:101], v[2:3]
	v_mul_f64_e32 v[66:67], v[100:101], v[0:1]
	s_wait_loadcnt_dscnt 0x305
	v_mul_f64_e32 v[68:69], v[106:107], v[6:7]
	v_mul_f64_e32 v[70:71], v[106:107], v[4:5]
	s_clause 0x1
	scratch_load_b128 v[100:103], off, off offset:36 th:TH_LOAD_LU
	scratch_load_b128 v[106:109], off, off offset:116 th:TH_LOAD_LU
	s_wait_loadcnt 0x4
	v_mov_b32_e32 v96, v28
	ds_load_b128 v[28:31], v168 offset:9504
	ds_load_b128 v[32:35], v168 offset:2816
	;; [unrolled: 1-line block ×9, first 2 shown]
	scratch_load_b128 v[112:115], off, off offset:84 th:TH_LOAD_LU ; 16-byte Folded Reload
	s_wait_loadcnt_dscnt 0x30b
	v_mul_f64_e32 v[80:81], v[118:119], v[18:19]
	v_mul_f64_e32 v[82:83], v[118:119], v[16:17]
	v_mad_co_u64_u32 v[84:85], null, s6, v96, 0
	v_mad_co_u64_u32 v[86:87], null, s4, v97, 0
	v_fma_f64 v[64:65], v[98:99], v[0:1], v[64:65]
	v_fma_f64 v[66:67], v[98:99], v[2:3], -v[66:67]
	v_fma_f64 v[68:69], v[104:105], v[4:5], v[68:69]
	v_fma_f64 v[70:71], v[104:105], v[6:7], -v[70:71]
	;; [unrolled: 2-line block ×3, first 2 shown]
	s_wait_alu 0xfffe
	v_mul_f64_e32 v[18:19], s[2:3], v[66:67]
	s_wait_loadcnt 0x2
	v_mul_f64_e32 v[72:73], v[102:103], v[10:11]
	s_wait_loadcnt 0x1
	v_mul_f64_e32 v[76:77], v[108:109], v[14:15]
	v_mul_f64_e32 v[78:79], v[108:109], v[12:13]
	scratch_load_b128 v[108:111], off, off offset:68 th:TH_LOAD_LU ; 16-byte Folded Reload
	s_wait_loadcnt_dscnt 0x109
	v_mul_f64_e32 v[88:89], v[114:115], v[26:27]
	v_mul_f64_e32 v[90:91], v[114:115], v[24:25]
	scratch_load_b128 v[114:117], off, off offset:100 th:TH_LOAD_LU ; 16-byte Folded Reload
	v_mul_f64_e32 v[74:75], v[102:103], v[8:9]
	v_fma_f64 v[72:73], v[100:101], v[8:9], v[72:73]
	v_mad_co_u64_u32 v[8:9], null, s7, v96, v[85:86]
	v_fma_f64 v[76:77], v[106:107], v[12:13], v[76:77]
	v_mad_co_u64_u32 v[16:17], null, s5, v97, v[87:88]
	s_lshl_b64 s[6:7], s[0:1], 4
	v_fma_f64 v[74:75], v[100:101], v[10:11], -v[74:75]
	s_mul_u64 s[0:1], s[4:5], s[10:11]
	s_delay_alu instid0(VALU_DEP_4)
	v_mov_b32_e32 v85, v8
	v_fma_f64 v[78:79], v[106:107], v[14:15], -v[78:79]
	s_wait_alu 0xfffe
	s_lshl_b64 s[4:5], s[0:1], 4
	v_mov_b32_e32 v87, v16
	v_fma_f64 v[88:89], v[112:113], v[24:25], v[88:89]
	v_lshlrev_b64_e32 v[16:17], 4, v[84:85]
	v_fma_f64 v[90:91], v[112:113], v[26:27], -v[90:91]
	s_delay_alu instid0(VALU_DEP_4) | instskip(NEXT) | instid1(VALU_DEP_3)
	v_lshlrev_b64_e32 v[86:87], 4, v[86:87]
	v_add_co_u32 v106, s0, s8, v16
	s_wait_alu 0xf1ff
	s_delay_alu instid0(VALU_DEP_4)
	v_add_co_ci_u32_e64 v107, s0, s9, v17, s0
	v_mul_f64_e32 v[16:17], s[2:3], v[64:65]
	v_mul_f64_e32 v[24:25], s[2:3], v[72:73]
	v_add_co_u32 v72, s0, v106, v86
	v_mul_f64_e32 v[64:65], s[2:3], v[76:77]
	s_wait_alu 0xf1ff
	v_add_co_ci_u32_e64 v73, s0, v107, v87, s0
	v_mul_f64_e32 v[26:27], s[2:3], v[74:75]
	v_mul_f64_e32 v[66:67], s[2:3], v[78:79]
	s_wait_loadcnt 0x1
	v_mul_f64_e32 v[92:93], v[110:111], v[22:23]
	v_mul_f64_e32 v[94:95], v[110:111], v[20:21]
	s_wait_loadcnt_dscnt 0x8
	v_mul_f64_e32 v[96:97], v[116:117], v[30:31]
	v_mul_f64_e32 v[98:99], v[116:117], v[28:29]
	scratch_load_b128 v[116:119], off, off offset:148 th:TH_LOAD_LU ; 16-byte Folded Reload
	ds_load_b128 v[0:3], v168 offset:5632
	ds_load_b128 v[4:7], v168 offset:6336
	;; [unrolled: 1-line block ×4, first 2 shown]
	v_fma_f64 v[92:93], v[108:109], v[20:21], v[92:93]
	v_fma_f64 v[94:95], v[108:109], v[22:23], -v[94:95]
	v_mul_f64_e32 v[20:21], s[2:3], v[68:69]
	v_fma_f64 v[74:75], v[114:115], v[28:29], v[96:97]
	v_fma_f64 v[76:77], v[114:115], v[30:31], -v[98:99]
	v_mul_f64_e32 v[22:23], s[2:3], v[70:71]
	v_mul_f64_e32 v[68:69], s[2:3], v[80:81]
	;; [unrolled: 1-line block ×3, first 2 shown]
	v_add_co_u32 v82, s0, v72, s6
	s_wait_alu 0xf1ff
	v_add_co_ci_u32_e64 v83, s0, s7, v73, s0
	v_mul_f64_e32 v[28:29], s[2:3], v[88:89]
	s_wait_alu 0xfffe
	v_add_co_u32 v96, s0, v82, s4
	s_wait_alu 0xf1ff
	v_add_co_ci_u32_e64 v97, s0, s5, v83, s0
	v_mul_f64_e32 v[30:31], s[2:3], v[90:91]
	scratch_load_b128 v[112:115], off, off offset:132 th:TH_LOAD_LU ; 16-byte Folded Reload
	s_wait_loadcnt_dscnt 0x10b
	v_mul_f64_e32 v[100:101], v[118:119], v[34:35]
	v_mul_f64_e32 v[102:103], v[118:119], v[32:33]
	scratch_load_b128 v[118:121], off, off offset:164 th:TH_LOAD_LU ; 16-byte Folded Reload
	v_fma_f64 v[78:79], v[116:117], v[32:33], v[100:101]
	v_add_co_u32 v100, s0, v96, s6
	s_wait_alu 0xf1ff
	v_add_co_ci_u32_e64 v101, s0, s7, v97, s0
	v_fma_f64 v[80:81], v[116:117], v[34:35], -v[102:103]
	s_delay_alu instid0(VALU_DEP_3) | instskip(SKIP_1) | instid1(VALU_DEP_3)
	v_add_co_u32 v106, s0, v100, s4
	s_wait_alu 0xf1ff
	v_add_co_ci_u32_e64 v107, s0, s5, v101, s0
	v_mul_f64_e32 v[32:33], s[2:3], v[92:93]
	v_mul_f64_e32 v[34:35], s[2:3], v[94:95]
	v_add_co_u32 v110, s0, v106, s6
	s_wait_alu 0xf1ff
	v_add_co_ci_u32_e64 v111, s0, s7, v107, s0
	s_wait_loadcnt_dscnt 0x10a
	v_mul_f64_e32 v[86:87], v[114:115], v[38:39]
	v_mul_f64_e32 v[98:99], v[114:115], v[36:37]
	scratch_load_b128 v[114:117], off, off offset:196 th:TH_LOAD_LU ; 16-byte Folded Reload
	s_clause 0x4
	global_store_b128 v[72:73], v[16:19], off
	global_store_b128 v[82:83], v[20:23], off
	;; [unrolled: 1-line block ×5, first 2 shown]
	v_mul_f64_e32 v[16:17], s[2:3], v[74:75]
	v_mul_f64_e32 v[18:19], s[2:3], v[76:77]
	scratch_load_b128 v[126:129], off, off offset:244 th:TH_LOAD_LU ; 16-byte Folded Reload
	v_mul_f64_e32 v[20:21], s[2:3], v[78:79]
	v_mul_f64_e32 v[22:23], s[2:3], v[80:81]
	v_fma_f64 v[36:37], v[112:113], v[36:37], v[86:87]
	v_fma_f64 v[38:39], v[112:113], v[38:39], -v[98:99]
	s_wait_loadcnt_dscnt 0x209
	v_mul_f64_e32 v[84:85], v[120:121], v[42:43]
	v_mul_f64_e32 v[104:105], v[120:121], v[40:41]
	scratch_load_b128 v[120:123], off, off offset:212 th:TH_LOAD_LU ; 16-byte Folded Reload
	v_fma_f64 v[40:41], v[118:119], v[40:41], v[84:85]
	v_fma_f64 v[42:43], v[118:119], v[42:43], -v[104:105]
	v_add_co_u32 v84, s0, v110, s4
	s_wait_alu 0xf1ff
	v_add_co_ci_u32_e64 v85, s0, s5, v111, s0
	s_delay_alu instid0(VALU_DEP_2) | instskip(SKIP_1) | instid1(VALU_DEP_2)
	v_add_co_u32 v86, s0, v84, s6
	s_wait_alu 0xf1ff
	v_add_co_ci_u32_e64 v87, s0, s7, v85, s0
	s_delay_alu instid0(VALU_DEP_2) | instskip(SKIP_1) | instid1(VALU_DEP_2)
	v_add_co_u32 v96, s0, v86, s4
	s_wait_alu 0xf1ff
	v_add_co_ci_u32_e64 v97, s0, s5, v87, s0
	s_wait_loadcnt_dscnt 0x208
	v_mul_f64_e32 v[102:103], v[116:117], v[46:47]
	v_mul_f64_e32 v[108:109], v[116:117], v[44:45]
	s_wait_loadcnt_dscnt 0x105
	v_mul_f64_e32 v[64:65], v[128:129], v[58:59]
	v_mul_f64_e32 v[66:67], v[128:129], v[56:57]
	scratch_load_b128 v[128:131], off, off offset:260 th:TH_LOAD_LU ; 16-byte Folded Reload
	v_fma_f64 v[44:45], v[114:115], v[44:45], v[102:103]
	v_fma_f64 v[46:47], v[114:115], v[46:47], -v[108:109]
	s_wait_loadcnt 0x1
	v_mul_f64_e32 v[24:25], v[122:123], v[50:51]
	v_mul_f64_e32 v[26:27], v[122:123], v[48:49]
	scratch_load_b128 v[122:125], off, off offset:228 th:TH_LOAD_LU ; 16-byte Folded Reload
	v_fma_f64 v[24:25], v[120:121], v[48:49], v[24:25]
	v_fma_f64 v[26:27], v[120:121], v[50:51], -v[26:27]
	v_fma_f64 v[48:49], v[126:127], v[56:57], v[64:65]
	v_fma_f64 v[50:51], v[126:127], v[58:59], -v[66:67]
	v_add_co_u32 v64, s0, v96, s6
	s_wait_alu 0xf1ff
	v_add_co_ci_u32_e64 v65, s0, s7, v97, s0
	s_delay_alu instid0(VALU_DEP_2) | instskip(SKIP_1) | instid1(VALU_DEP_2)
	v_add_co_u32 v66, s0, v64, s4
	s_wait_alu 0xf1ff
	v_add_co_ci_u32_e64 v67, s0, s5, v65, s0
	s_wait_loadcnt_dscnt 0x104
	v_mul_f64_e32 v[72:73], v[130:131], v[62:63]
	v_mul_f64_e32 v[74:75], v[130:131], v[60:61]
	scratch_load_b128 v[130:133], off, off offset:276 th:TH_LOAD_LU ; 16-byte Folded Reload
	s_wait_loadcnt 0x1
	v_mul_f64_e32 v[68:69], v[124:125], v[54:55]
	v_mul_f64_e32 v[70:71], v[124:125], v[52:53]
	s_wait_loadcnt_dscnt 0x3
	v_mul_f64_e32 v[76:77], v[132:133], v[2:3]
	v_mul_f64_e32 v[78:79], v[132:133], v[0:1]
	scratch_load_b128 v[132:135], off, off offset:292 th:TH_LOAD_LU ; 16-byte Folded Reload
	s_wait_loadcnt_dscnt 0x1
	v_mul_f64_e32 v[80:81], v[134:135], v[10:11]
	v_mul_f64_e32 v[82:83], v[134:135], v[8:9]
	scratch_load_b128 v[134:137], off, off offset:308 th:TH_LOAD_LU ; 16-byte Folded Reload
	s_wait_loadcnt 0x0
	v_mul_f64_e32 v[88:89], v[136:137], v[6:7]
	v_mul_f64_e32 v[90:91], v[136:137], v[4:5]
	scratch_load_b128 v[136:139], off, off offset:324 th:TH_LOAD_LU ; 16-byte Folded Reload
	global_store_b128 v[110:111], v[28:31], off
	global_store_b128 v[84:85], v[32:35], off
	;; [unrolled: 1-line block ×4, first 2 shown]
	v_fma_f64 v[20:21], v[122:123], v[52:53], v[68:69]
	v_fma_f64 v[22:23], v[122:123], v[54:55], -v[70:71]
	v_fma_f64 v[28:29], v[128:129], v[60:61], v[72:73]
	v_fma_f64 v[30:31], v[128:129], v[62:63], -v[74:75]
	;; [unrolled: 2-line block ×4, first 2 shown]
	v_mul_f64_e32 v[0:1], s[2:3], v[40:41]
	v_mul_f64_e32 v[2:3], s[2:3], v[42:43]
	;; [unrolled: 1-line block ×4, first 2 shown]
	v_add_co_u32 v44, s0, v66, s6
	v_mul_f64_e32 v[16:17], s[2:3], v[48:49]
	v_mul_f64_e32 v[18:19], s[2:3], v[50:51]
	s_wait_alu 0xf1ff
	v_add_co_ci_u32_e64 v45, s0, s7, v67, s0
	v_add_co_u32 v46, s0, v44, s4
	s_wait_alu 0xf1ff
	s_delay_alu instid0(VALU_DEP_2) | instskip(NEXT) | instid1(VALU_DEP_2)
	v_add_co_ci_u32_e64 v47, s0, s5, v45, s0
	v_add_co_u32 v48, s0, v46, s6
	s_wait_alu 0xf1ff
	s_delay_alu instid0(VALU_DEP_2)
	v_add_co_ci_u32_e64 v49, s0, s7, v47, s0
	v_fma_f64 v[56:57], v[134:135], v[4:5], v[88:89]
	v_fma_f64 v[58:59], v[134:135], v[6:7], -v[90:91]
	v_mul_f64_e32 v[4:5], s[2:3], v[36:37]
	v_mul_f64_e32 v[6:7], s[2:3], v[38:39]
	;; [unrolled: 1-line block ×4, first 2 shown]
	global_store_b128 v[64:65], v[0:3], off
	v_add_co_u32 v0, s0, v48, s4
	s_wait_alu 0xf1ff
	v_add_co_ci_u32_e64 v1, s0, s5, v49, s0
	s_delay_alu instid0(VALU_DEP_2) | instskip(SKIP_1) | instid1(VALU_DEP_2)
	v_add_co_u32 v2, s0, v0, s6
	s_wait_alu 0xf1ff
	v_add_co_ci_u32_e64 v3, s0, s7, v1, s0
	v_mul_f64_e32 v[36:37], s[2:3], v[56:57]
	v_mul_f64_e32 v[38:39], s[2:3], v[58:59]
	global_store_b128 v[66:67], v[4:7], off
	v_add_co_u32 v4, s0, v2, s4
	global_store_b128 v[44:45], v[8:11], off
	s_wait_alu 0xf1ff
	v_add_co_ci_u32_e64 v5, s0, s5, v3, s0
	v_add_co_u32 v6, s0, v4, s6
	s_wait_alu 0xf1ff
	s_delay_alu instid0(VALU_DEP_2) | instskip(NEXT) | instid1(VALU_DEP_2)
	v_add_co_ci_u32_e64 v7, s0, s7, v5, s0
	v_add_co_u32 v8, s0, v6, s4
	s_wait_alu 0xf1ff
	s_delay_alu instid0(VALU_DEP_2) | instskip(SKIP_3) | instid1(VALU_DEP_2)
	v_add_co_ci_u32_e64 v9, s0, s5, v7, s0
	s_wait_loadcnt_dscnt 0x0
	v_mul_f64_e32 v[92:93], v[138:139], v[14:15]
	v_mul_f64_e32 v[94:95], v[138:139], v[12:13]
	v_fma_f64 v[60:61], v[136:137], v[12:13], v[92:93]
	s_delay_alu instid0(VALU_DEP_2)
	v_fma_f64 v[62:63], v[136:137], v[14:15], -v[94:95]
	v_mul_f64_e32 v[12:13], s[2:3], v[24:25]
	v_mul_f64_e32 v[14:15], s[2:3], v[26:27]
	;; [unrolled: 1-line block ×10, first 2 shown]
	global_store_b128 v[46:47], v[12:15], off
	global_store_b128 v[48:49], v[16:19], off
	;; [unrolled: 1-line block ×3, first 2 shown]
	v_add_co_u32 v0, s0, v8, s6
	s_wait_alu 0xf1ff
	v_add_co_ci_u32_e64 v1, s0, s7, v9, s0
	global_store_b128 v[2:3], v[24:27], off
	global_store_b128 v[4:5], v[28:31], off
	;; [unrolled: 1-line block ×5, first 2 shown]
	s_and_b32 exec_lo, exec_lo, vcc_lo
	s_cbranch_execz .LBB0_31
; %bb.30:
	scratch_load_b64 v[16:17], off, off offset:4 th:TH_LOAD_LU ; 8-byte Folded Reload
	s_wait_loadcnt 0x0
	global_load_b128 v[2:5], v[16:17], off offset:7040
	ds_load_b128 v[6:9], v168 offset:7040
	ds_load_b128 v[10:13], v168 offset:14432
	s_wait_loadcnt_dscnt 0x1
	v_mul_f64_e32 v[14:15], v[8:9], v[4:5]
	v_mul_f64_e32 v[4:5], v[6:7], v[4:5]
	s_delay_alu instid0(VALU_DEP_2) | instskip(NEXT) | instid1(VALU_DEP_2)
	v_fma_f64 v[6:7], v[6:7], v[2:3], v[14:15]
	v_fma_f64 v[4:5], v[2:3], v[8:9], -v[4:5]
	s_delay_alu instid0(VALU_DEP_2) | instskip(NEXT) | instid1(VALU_DEP_2)
	v_mul_f64_e32 v[2:3], s[2:3], v[6:7]
	v_mul_f64_e32 v[4:5], s[2:3], v[4:5]
	v_add_co_u32 v6, vcc_lo, v0, s4
	s_wait_alu 0xfffd
	v_add_co_ci_u32_e32 v7, vcc_lo, s5, v1, vcc_lo
	global_store_b128 v[6:7], v[2:5], off
	global_load_b128 v[0:3], v[16:17], off offset:14432
	s_wait_loadcnt_dscnt 0x0
	v_mul_f64_e32 v[4:5], v[12:13], v[2:3]
	v_mul_f64_e32 v[2:3], v[10:11], v[2:3]
	s_delay_alu instid0(VALU_DEP_2) | instskip(NEXT) | instid1(VALU_DEP_2)
	v_fma_f64 v[4:5], v[10:11], v[0:1], v[4:5]
	v_fma_f64 v[2:3], v[0:1], v[12:13], -v[2:3]
	s_delay_alu instid0(VALU_DEP_2) | instskip(NEXT) | instid1(VALU_DEP_2)
	v_mul_f64_e32 v[0:1], s[2:3], v[4:5]
	v_mul_f64_e32 v[2:3], s[2:3], v[2:3]
	v_add_co_u32 v4, vcc_lo, v6, s6
	s_wait_alu 0xfffd
	v_add_co_ci_u32_e32 v5, vcc_lo, s7, v7, vcc_lo
	global_store_b128 v[4:5], v[0:3], off
.LBB0_31:
	s_nop 0
	s_sendmsg sendmsg(MSG_DEALLOC_VGPRS)
	s_endpgm
	.section	.rodata,"a",@progbits
	.p2align	6, 0x0
	.amdhsa_kernel bluestein_single_back_len924_dim1_dp_op_CI_CI
		.amdhsa_group_segment_fixed_size 14784
		.amdhsa_private_segment_fixed_size 908
		.amdhsa_kernarg_size 104
		.amdhsa_user_sgpr_count 2
		.amdhsa_user_sgpr_dispatch_ptr 0
		.amdhsa_user_sgpr_queue_ptr 0
		.amdhsa_user_sgpr_kernarg_segment_ptr 1
		.amdhsa_user_sgpr_dispatch_id 0
		.amdhsa_user_sgpr_private_segment_size 0
		.amdhsa_wavefront_size32 1
		.amdhsa_uses_dynamic_stack 0
		.amdhsa_enable_private_segment 1
		.amdhsa_system_sgpr_workgroup_id_x 1
		.amdhsa_system_sgpr_workgroup_id_y 0
		.amdhsa_system_sgpr_workgroup_id_z 0
		.amdhsa_system_sgpr_workgroup_info 0
		.amdhsa_system_vgpr_workitem_id 0
		.amdhsa_next_free_vgpr 256
		.amdhsa_next_free_sgpr 42
		.amdhsa_reserve_vcc 1
		.amdhsa_float_round_mode_32 0
		.amdhsa_float_round_mode_16_64 0
		.amdhsa_float_denorm_mode_32 3
		.amdhsa_float_denorm_mode_16_64 3
		.amdhsa_fp16_overflow 0
		.amdhsa_workgroup_processor_mode 1
		.amdhsa_memory_ordered 1
		.amdhsa_forward_progress 0
		.amdhsa_round_robin_scheduling 0
		.amdhsa_exception_fp_ieee_invalid_op 0
		.amdhsa_exception_fp_denorm_src 0
		.amdhsa_exception_fp_ieee_div_zero 0
		.amdhsa_exception_fp_ieee_overflow 0
		.amdhsa_exception_fp_ieee_underflow 0
		.amdhsa_exception_fp_ieee_inexact 0
		.amdhsa_exception_int_div_zero 0
	.end_amdhsa_kernel
	.text
.Lfunc_end0:
	.size	bluestein_single_back_len924_dim1_dp_op_CI_CI, .Lfunc_end0-bluestein_single_back_len924_dim1_dp_op_CI_CI
                                        ; -- End function
	.section	.AMDGPU.csdata,"",@progbits
; Kernel info:
; codeLenInByte = 31388
; NumSgprs: 44
; NumVgprs: 256
; ScratchSize: 908
; MemoryBound: 0
; FloatMode: 240
; IeeeMode: 1
; LDSByteSize: 14784 bytes/workgroup (compile time only)
; SGPRBlocks: 5
; VGPRBlocks: 31
; NumSGPRsForWavesPerEU: 44
; NumVGPRsForWavesPerEU: 256
; Occupancy: 4
; WaveLimiterHint : 1
; COMPUTE_PGM_RSRC2:SCRATCH_EN: 1
; COMPUTE_PGM_RSRC2:USER_SGPR: 2
; COMPUTE_PGM_RSRC2:TRAP_HANDLER: 0
; COMPUTE_PGM_RSRC2:TGID_X_EN: 1
; COMPUTE_PGM_RSRC2:TGID_Y_EN: 0
; COMPUTE_PGM_RSRC2:TGID_Z_EN: 0
; COMPUTE_PGM_RSRC2:TIDIG_COMP_CNT: 0
	.text
	.p2alignl 7, 3214868480
	.fill 96, 4, 3214868480
	.type	__hip_cuid_740ebcf3a003d377,@object ; @__hip_cuid_740ebcf3a003d377
	.section	.bss,"aw",@nobits
	.globl	__hip_cuid_740ebcf3a003d377
__hip_cuid_740ebcf3a003d377:
	.byte	0                               ; 0x0
	.size	__hip_cuid_740ebcf3a003d377, 1

	.ident	"AMD clang version 19.0.0git (https://github.com/RadeonOpenCompute/llvm-project roc-6.4.0 25133 c7fe45cf4b819c5991fe208aaa96edf142730f1d)"
	.section	".note.GNU-stack","",@progbits
	.addrsig
	.addrsig_sym __hip_cuid_740ebcf3a003d377
	.amdgpu_metadata
---
amdhsa.kernels:
  - .args:
      - .actual_access:  read_only
        .address_space:  global
        .offset:         0
        .size:           8
        .value_kind:     global_buffer
      - .actual_access:  read_only
        .address_space:  global
        .offset:         8
        .size:           8
        .value_kind:     global_buffer
      - .actual_access:  read_only
        .address_space:  global
        .offset:         16
        .size:           8
        .value_kind:     global_buffer
      - .actual_access:  read_only
        .address_space:  global
        .offset:         24
        .size:           8
        .value_kind:     global_buffer
      - .actual_access:  read_only
        .address_space:  global
        .offset:         32
        .size:           8
        .value_kind:     global_buffer
      - .offset:         40
        .size:           8
        .value_kind:     by_value
      - .address_space:  global
        .offset:         48
        .size:           8
        .value_kind:     global_buffer
      - .address_space:  global
        .offset:         56
        .size:           8
        .value_kind:     global_buffer
      - .address_space:  global
        .offset:         64
        .size:           8
        .value_kind:     global_buffer
      - .address_space:  global
        .offset:         72
        .size:           8
        .value_kind:     global_buffer
      - .offset:         80
        .size:           4
        .value_kind:     by_value
      - .address_space:  global
        .offset:         88
        .size:           8
        .value_kind:     global_buffer
      - .address_space:  global
        .offset:         96
        .size:           8
        .value_kind:     global_buffer
    .group_segment_fixed_size: 14784
    .kernarg_segment_align: 8
    .kernarg_segment_size: 104
    .language:       OpenCL C
    .language_version:
      - 2
      - 0
    .max_flat_workgroup_size: 44
    .name:           bluestein_single_back_len924_dim1_dp_op_CI_CI
    .private_segment_fixed_size: 908
    .sgpr_count:     44
    .sgpr_spill_count: 0
    .symbol:         bluestein_single_back_len924_dim1_dp_op_CI_CI.kd
    .uniform_work_group_size: 1
    .uses_dynamic_stack: false
    .vgpr_count:     256
    .vgpr_spill_count: 226
    .wavefront_size: 32
    .workgroup_processor_mode: 1
amdhsa.target:   amdgcn-amd-amdhsa--gfx1201
amdhsa.version:
  - 1
  - 2
...

	.end_amdgpu_metadata
